;; amdgpu-corpus repo=ROCm/aiter kind=harvested arch=n/a opt=n/a

/root/src/amdgpu-assembly/repos/ROCm__aiter/hsa/gfx942/pa/pa_fp16_pertokenFp8_gqa8_2tg_4w_hp.co:	file format elf64-amdgpu

Disassembly of section .text:

0000000000002100 <_ZN5aiter34pa_fp16_pertokenFp8_gqa8_2tg_4w_hpE>:
	s_and_b32 s1, s1, 0xffff                                   // 000000002100: 8601FF01 0000FFFF
	s_load_dwordx2 s[8:9], s[0:1], 0x0                         // 000000002108: C0060200 00000000
	s_load_dwordx2 s[12:13], s[0:1], 0x10                      // 000000002110: C0060300 00000010
	s_load_dwordx2 s[16:17], s[0:1], 0x20                      // 000000002118: C0060400 00000020
	s_load_dwordx2 s[20:21], s[0:1], 0x30                      // 000000002120: C0060500 00000030
	s_load_dwordx2 s[24:25], s[0:1], 0x40                      // 000000002128: C0060600 00000040
	s_load_dwordx2 s[28:29], s[0:1], 0x50                      // 000000002130: C0060700 00000050
	s_load_dwordx2 s[32:33], s[0:1], 0x60                      // 000000002138: C0060800 00000060
	s_load_dwordx2 s[36:37], s[0:1], 0x70                      // 000000002140: C0060900 00000070
	s_load_dword s64, s[0:1], 0x80                             // 000000002148: C0021000 00000080
	s_load_dword s65, s[0:1], 0x90                             // 000000002150: C0021040 00000090
	s_load_dword s66, s[0:1], 0xa0                             // 000000002158: C0021080 000000A0
	s_load_dword s74, s[0:1], 0xb0                             // 000000002160: C0021280 000000B0
	s_load_dword s68, s[0:1], 0xc0                             // 000000002168: C0021100 000000C0
	s_load_dword s69, s[0:1], 0xd0                             // 000000002170: C0021140 000000D0
	s_load_dword s77, s[0:1], 0xe0                             // 000000002178: C0021340 000000E0
	v_lshrrev_b32_e32 v1, 10, v0                               // 000000002180: 2002008A
	v_lshrrev_b32_e32 v2, 10, v1                               // 000000002184: 2004028A
	v_and_b32_e32 v2, 0x3ff, v2                                // 000000002188: 260404FF 000003FF
	v_and_b32_e32 v1, 0x3ff, v1                                // 000000002190: 260202FF 000003FF
	v_and_b32_e32 v0, 0x3ff, v0                                // 000000002198: 260000FF 000003FF
	v_lshrrev_b32_e32 v3, 6, v0                                // 0000000021A0: 20060086
	v_and_b32_e32 v0, 63, v0                                   // 0000000021A4: 260000BF
	s_mov_b32 s2, s2                                           // 0000000021A8: BE820002
	s_mov_b32 s3, s3                                           // 0000000021AC: BE830003
	s_mov_b32 s4, s4                                           // 0000000021B0: BE840004
	v_readfirstlane_b32 s7, v3                                 // 0000000021B4: 7E0E0503
	s_waitcnt lgkmcnt(0)                                       // 0000000021B8: BF8CC07F
	s_mul_i32 s67, 0x100, s77                                  // 0000000021BC: 92434DFF 00000100
	s_mul_i32 s76, 0x100, s77                                  // 0000000021C4: 924C4DFF 00000100
	s_mul_i32 s75, s66, s76                                    // 0000000021CC: 924B4C42
	s_mul_i32 s60, s3, 4                                       // 0000000021D0: 923C8403
	s_and_b32 s29, s29, 0xffff                                 // 0000000021D4: 861DFF1D 0000FFFF
	s_add_u32 s28, s60, s28                                    // 0000000021DC: 801C1C3C
	s_addc_u32 s29, 0, s29                                     // 0000000021E0: 821D1D80
	s_load_dword s72, s[28:29], 0x0                            // 0000000021E4: C002120E 00000000
	s_mov_b32 s10, s76                                         // 0000000021EC: BE8A004C
	s_mov_b32 s14, s67                                         // 0000000021F0: BE8E0043
	s_mul_i32 s60, 4, s65                                      // 0000000021F4: 923C4184
	s_mov_b32 s26, s60                                         // 0000000021F8: BE9A003C
	s_mov_b32 s34, 0x80000000                                  // 0000000021FC: BEA200FF 80000000
	s_mov_b32 s38, 0x80000000                                  // 000000002204: BEA600FF 80000000
	s_mov_b32 s18, 0x80000000                                  // 00000000220C: BE9200FF 80000000
	s_mov_b32 s22, 0x80000000                                  // 000000002214: BE9600FF 80000000
	s_mov_b32 s11, 0x20000                                     // 00000000221C: BE8B00FF 00020000
	s_mov_b32 s15, 0x20000                                     // 000000002224: BE8F00FF 00020000
	s_mov_b32 s19, 0x20000                                     // 00000000222C: BE9300FF 00020000
	s_mov_b32 s23, 0x20000                                     // 000000002234: BE9700FF 00020000
	s_mov_b32 s27, 0x20000                                     // 00000000223C: BE9B00FF 00020000
	s_mov_b32 s35, 0x20000                                     // 000000002244: BEA300FF 00020000
	s_mov_b32 s39, 0x20000                                     // 00000000224C: BEA700FF 00020000
	s_and_b32 s9, s9, 0xffff                                   // 000000002254: 8609FF09 0000FFFF
	s_and_b32 s13, s13, 0xffff                                 // 00000000225C: 860DFF0D 0000FFFF
	s_and_b32 s17, s17, 0xffff                                 // 000000002264: 8611FF11 0000FFFF
	s_and_b32 s21, s21, 0xffff                                 // 00000000226C: 8615FF15 0000FFFF
	s_and_b32 s25, s25, 0xffff                                 // 000000002274: 8619FF19 0000FFFF
	s_and_b32 s33, s33, 0xffff                                 // 00000000227C: 8621FF21 0000FFFF
	s_and_b32 s37, s37, 0xffff                                 // 000000002284: 8625FF25 0000FFFF
	s_or_b32 s9, s9, 0x40000                                   // 00000000228C: 8709FF09 00040000
	s_or_b32 s13, s13, 0x40000                                 // 000000002294: 870DFF0D 00040000
	s_or_b32 s17, s17, 0x40000                                 // 00000000229C: 8711FF11 00040000
	s_or_b32 s21, s21, 0x40000                                 // 0000000022A4: 8715FF15 00040000
	s_or_b32 s25, s25, 0x40000                                 // 0000000022AC: 8719FF19 00040000
	s_or_b32 s33, s33, 0x40000                                 // 0000000022B4: 8721FF21 00040000
	s_or_b32 s37, s37, 0x40000                                 // 0000000022BC: 8725FF25 00040000
	v_mov_b32_e32 v255, 0                                      // 0000000022C4: 7FFE0280
	s_mul_i32 s60, s3, s65                                     // 0000000022C8: 923C4103
	s_mul_i32 s60, s60, 4                                      // 0000000022CC: 923C843C
	s_add_u32 s24, s60, s24                                    // 0000000022D0: 8018183C
	s_addc_u32 s25, 0, s25                                     // 0000000022D4: 82191980
	s_mov_b32 s56, 64                                          // 0000000022D8: BEB800C0
	s_waitcnt lgkmcnt(0)                                       // 0000000022DC: BF8CC07F
	s_add_u32 s73, s72, 15                                     // 0000000022E0: 80498F48
	s_lshr_b32 s73, s73, 4                                     // 0000000022E4: 8F498449
	s_mul_i32 s60, s73, 4                                      // 0000000022E8: 923C8449
	s_mov_b32 s26, s60                                         // 0000000022EC: BE9A003C
	v_and_b32_e32 v39, 3, v0                                   // 0000000022F0: 264E0083
	v_cmp_eq_u32_e64 s[60:61], 0, v39                          // 0000000022F4: D0CA003C 00024E80
	v_and_b32_e32 v38, 12, v0                                  // 0000000022FC: 264C008C
	v_add_u32_e32 v1, s7, v38                                  // 000000002300: 68024C07
	v_cndmask_b32_e64 v1, 0, v1, s[60:61]                      // 000000002304: D1000001 00F20280
	v_and_b32_e32 v39, 3, v0                                   // 00000000230C: 264E0083
	v_cmp_eq_u32_e64 s[60:61], 1, v39                          // 000000002310: D0CA003C 00024E81
	v_lshrrev_b32_e32 v38, 4, v0                               // 000000002318: 204C0084
	v_and_b32_e32 v39, 12, v0                                  // 00000000231C: 264E008C
	v_add_u32_e32 v38, v39, v38                                // 000000002320: 684C4D27
	v_cndmask_b32_e64 v38, 0, v38, s[60:61]                    // 000000002324: D1000026 00F24C80
	v_add_u32_e32 v1, v1, v38                                  // 00000000232C: 68024D01
	v_lshlrev_b32_e32 v1, 2, v1                                // 000000002330: 24020282
	buffer_load_dword v16, v1, s[24:27], 0 offen               // 000000002334: E0501000 80061001
	v_add_u32_e32 v1, s56, v1                                  // 00000000233C: 68020238
	buffer_load_dword v17, v1, s[24:27], 0 offen               // 000000002340: E0501000 80061101
	s_cmp_le_u32 s73, 32                                       // 000000002348: BF0BA049
	s_cselect_b32 s56, 0, s56                                  // 00000000234C: 85383880
	s_mul_i32 s60, s2, s67                                     // 000000002350: 923C4302
	s_mul_i32 s61, s3, s74                                     // 000000002354: 923D4A03
	s_add_u32 s60, s60, s61                                    // 000000002358: 803C3D3C
	s_add_u32 s12, s60, s12                                    // 00000000235C: 800C0C3C
	s_addc_u32 s13, 0, s13                                     // 000000002360: 820D0D80
	s_mul_i32 s60, s7, 0x108                                   // 000000002364: 923CFF07 00000108
	s_add_u32 m0, 0, s60                                       // 00000000236C: 807C3C80
	s_mul_i32 s60, s7, 0x100                                   // 000000002370: 923CFF07 00000100
	v_lshlrev_b32_e32 v38, 2, v0                               // 000000002378: 244C0082
	v_add_u32_e64 v38, v38, s60                                // 00000000237C: D1340026 00007926
	buffer_load_dword v38, s[12:15], 0 offen lds               // 000000002384: E0511000 80030026
	s_mul_i32 s60, 4, 0x108                                    // 00000000238C: 923CFF84 00000108
	s_add_u32 m0, m0, s60                                      // 000000002394: 807C3C7C
	v_add_u32_e32 v38, 0x400, v38                              // 000000002398: 684C4CFF 00000400
	buffer_load_dword v38, s[12:15], 0 offen lds               // 0000000023A0: E0511000 80030026
	s_mul_i32 s60, 4, 0x108                                    // 0000000023A8: 923CFF84 00000108
	s_add_u32 m0, m0, s60                                      // 0000000023B0: 807C3C7C
	v_add_u32_e32 v38, 0x400, v38                              // 0000000023B4: 684C4CFF 00000400
	s_mul_i32 s60, s7, 0x108                                   // 0000000023BC: 923CFF07 00000108
	v_lshlrev_b32_e32 v38, 2, v0                               // 0000000023C4: 244C0082
	v_add_u32_e64 v38, v38, s60                                // 0000000023C8: D1340026 00007926
	v_mov_b32_e32 v39, 0                                       // 0000000023D0: 7E4E0280
	ds_write_b32 v38, v39 offset:2112                          // 0000000023D4: D81A0840 00002726
	ds_write_b32 v38, v39 offset:3168                          // 0000000023DC: D81A0C60 00002726
	v_lshrrev_b32_e32 v38, 4, v0                               // 0000000023E4: 204C0084
	v_lshlrev_b32_e32 v38, 2, v38                              // 0000000023E8: 244C4C82
	v_and_b32_e32 v39, 3, v0                                   // 0000000023EC: 264E0083
	v_add_u32_e32 v38, v39, v38                                // 0000000023F0: 684C4D27
	v_lshlrev_b32_e32 v57, 2, v38                              // 0000000023F4: 24724C82
	v_mov_b32_e32 v58, v57                                     // 0000000023F8: 7E740339
	s_mul_i32 s60, s2, 64                                      // 0000000023FC: 923CC002
	s_add_u32 s32, s60, s32                                    // 000000002400: 8020203C
	s_addc_u32 s33, 0, s33                                     // 000000002404: 82212180
	s_add_u32 s36, s60, s36                                    // 000000002408: 8024243C
	s_addc_u32 s37, 0, s37                                     // 00000000240C: 82252580
	s_mul_i32 s60, s2, s76                                     // 000000002410: 923C4C02
	s_mul_i32 s61, s3, s75                                     // 000000002414: 923D4B03
	s_add_u32 s60, s60, s61                                    // 000000002418: 803C3D3C
	s_add_u32 s8, s60, s8                                      // 00000000241C: 8008083C
	s_addc_u32 s9, 0, s9                                       // 000000002420: 82090980
	s_mul_i32 s60, s7, 0x100                                   // 000000002424: 923CFF07 00000100
	v_lshlrev_b32_e32 v8, 2, v0                                // 00000000242C: 24100082
	v_add_u32_e64 v8, v8, s60                                  // 000000002430: D1340008 00007908
	s_mov_b32 s70, 0                                           // 000000002438: BEC60080
	s_and_b32 s71, s72, 0xffffff00                             // 00000000243C: 8647FF48 FFFFFF00
	s_mov_b32 s42, 0xff00ff00                                  // 000000002444: BEAA00FF FF00FF00
	s_mov_b32 s43, 0xff00ff00                                  // 00000000244C: BEAB00FF FF00FF00
	s_mov_b32 s44, 0xf0f0f0f0                                  // 000000002454: BEAC00FF F0F0F0F0
	s_mov_b32 s45, 0xf0f0f0f0                                  // 00000000245C: BEAD00FF F0F0F0F0
	v_mul_i32_i24_e64 v61, 64, s66                             // 000000002464: D106003D 000084C0
	v_mov_b32_e32 v51, s68                                     // 00000000246C: 7E660244
	v_mov_b32_e32 v9, -1                                       // 000000002470: 7E1202C1
	s_mov_b32 s52, 0x7060302                                   // 000000002474: BEB400FF 07060302
	s_mov_b32 s53, 0x400                                       // 00000000247C: BEB500FF 00000400
	s_mov_b32 s54, 0x40100                                     // 000000002484: BEB600FF 00040100
	s_mov_b32 s55, 0x4020100                                   // 00000000248C: BEB700FF 04020100
	v_mov_b32_dpp v9, v9 row_shl:8 row_mask:0xf bank_mask:0xf bound_ctrl:1// 000000002494: 7E1202FA FF090809
	s_mov_b32 s6, 0x3fb8aa3b                                   // 00000000249C: BE8600FF 3FB8AA3B
	v_mov_b32_e32 v14, 0xff800000                              // 0000000024A4: 7E1C02FF FF800000
	v_mov_b32_e32 v52, 0xff800000                              // 0000000024AC: 7E6802FF FF800000
	v_mov_b32_e32 v49, 0                                       // 0000000024B4: 7E620280
	v_mov_b32_e32 v42, 0                                       // 0000000024B8: 7E540280
	v_mov_b32_e32 v47, 0                                       // 0000000024BC: 7E5E0280
	v_mov_b32_e32 v19, 0xffff0000                              // 0000000024C0: 7E2602FF FFFF0000
	v_mov_b32_e32 v20, 0x7fff0000                              // 0000000024C8: 7E2802FF 7FFF0000
	v_mov_b32_e32 v21, 0x7fff                                  // 0000000024D0: 7E2A02FF 00007FFF
	v_add_u32_e32 v1, s56, v1                                  // 0000000024D8: 68020238
	v_and_b32_e32 v10, 15, v0                                  // 0000000024DC: 2614008F
	v_lshlrev_b32_e32 v10, 2, v10                              // 0000000024E0: 24141482
	v_lshlrev_b32_e32 v11, 2, v0                               // 0000000024E4: 24160082
	s_mul_i32 s60, 0x100, s7                                   // 0000000024E8: 923C07FF 00000100
	v_add_u32_e32 v11, s60, v11                                // 0000000024F0: 6816163C
	v_lshrrev_b32_e32 v38, 4, v0                               // 0000000024F4: 204C0084
	v_lshlrev_b32_e32 v39, 6, v38                              // 0000000024F8: 244E4C86
	v_and_b32_e32 v38, 15, v0                                  // 0000000024FC: 264C008F
	v_lshlrev_b32_e32 v38, 1, v38                              // 000000002500: 244C4C81
	v_add_u32_e32 v39, v38, v39                                // 000000002504: 684E4F26
	v_lshlrev_b32_e32 v12, 2, v39                              // 000000002508: 24184E82
	v_lshrrev_b32_e32 v38, 5, v0                               // 00000000250C: 204C0085
	v_lshlrev_b32_e32 v39, 5, v38                              // 000000002510: 244E4C85
	v_and_b32_e32 v38, 31, v0                                  // 000000002514: 264C009F
	v_lshrrev_b32_e32 v40, 4, v38                              // 000000002518: 20504C84
	v_add_u32_e32 v39, v40, v39                                // 00000000251C: 684E4F28
	v_and_b32_e32 v38, 15, v0                                  // 000000002520: 264C008F
	v_lshlrev_b32_e32 v38, 1, v38                              // 000000002524: 244C4C81
	v_add_u32_e32 v39, v38, v39                                // 000000002528: 684E4F26
	v_lshlrev_b32_e32 v38, 2, v39                              // 00000000252C: 244C4E82
	s_mul_i32 s60, 0x100, s7                                   // 000000002530: 923C07FF 00000100
	v_add_u32_e64 v13, v38, s60                                // 000000002538: D134000D 00007926
	v_lshlrev_b32_e32 v6, 4, v0                                // 000000002540: 240C0084
	s_mul_i32 s60, s2, s69                                     // 000000002544: 923C4502
	s_add_u32 s16, s60, s16                                    // 000000002548: 8010103C
	s_addc_u32 s17, 0, s17                                     // 00000000254C: 82111180
	v_and_b32_e32 v38, 15, v0                                  // 000000002550: 264C008F
	v_lshlrev_b32_e32 v7, 4, v38                               // 000000002554: 240E4C84
	s_mul_i32 s61, s2, s69                                     // 000000002558: 923D4502
	s_mul_i32 s60, s7, 0x100                                   // 00000000255C: 923CFF07 00000100
	s_add_u32 s60, s60, s61                                    // 000000002564: 803C3D3C
	s_add_u32 s20, s60, s20                                    // 000000002568: 8014143C
	s_addc_u32 s21, 0, s21                                     // 00000000256C: 82151580
	s_waitcnt vmcnt(2)                                         // 000000002570: BF8C0F72
	v_mul_u32_u24_dpp v38, v16, v51 row_newbcast:0 row_mask:0xf bank_mask:0xf// 000000002574: 104C66FA FF015010
	v_mul_u32_u24_dpp v39, v16, v51 row_newbcast:4 row_mask:0xf bank_mask:0xf// 00000000257C: 104E66FA FF015410
	v_mul_u32_u24_dpp v40, v16, v51 row_newbcast:8 row_mask:0xf bank_mask:0xf// 000000002584: 105066FA FF015810
	v_mul_u32_u24_dpp v41, v16, v51 row_newbcast:12 row_mask:0xf bank_mask:0xf// 00000000258C: 105266FA FF015C10
	v_add_u32_e32 v22, v38, v6                                 // 000000002594: 682C0D26
	v_add_u32_e32 v23, v39, v6                                 // 000000002598: 682E0D27
	v_add_u32_e32 v24, v40, v6                                 // 00000000259C: 68300D28
	v_add_u32_e32 v25, v41, v6                                 // 0000000025A0: 68320D29
	v_mul_u32_u24_dpp v38, v16, v51 row_newbcast:1 row_mask:0xf bank_mask:0xf// 0000000025A4: 104C66FA FF015110
	v_mul_u32_u24_dpp v39, v16, v51 row_newbcast:5 row_mask:0xf bank_mask:0xf// 0000000025AC: 104E66FA FF015510
	v_mul_u32_u24_dpp v40, v16, v51 row_newbcast:9 row_mask:0xf bank_mask:0xf// 0000000025B4: 105066FA FF015910
	v_mul_u32_u24_dpp v41, v16, v51 row_newbcast:13 row_mask:0xf bank_mask:0xf// 0000000025BC: 105266FA FF015D10
	v_add_u32_e32 v30, v38, v7                                 // 0000000025C4: 683C0F26
	v_add_u32_e32 v31, v39, v7                                 // 0000000025C8: 683E0F27
	v_add_u32_e32 v32, v40, v7                                 // 0000000025CC: 68400F28
	v_add_u32_e32 v33, v41, v7                                 // 0000000025D0: 68420F29
	v_mul_u32_u24_dpp v38, v16, v61 quad_perm:[0,0,0,0] row_mask:0xf bank_mask:0xf// 0000000025D4: 104C7AFA FF000010
	v_add_u32_e32 v2, v38, v57                                 // 0000000025DC: 68047326
	v_mul_u32_u24_dpp v38, v16, v61 quad_perm:[0,0,0,0] row_mask:0xf bank_mask:0xf// 0000000025E0: 104C7AFA FF000010
	v_add_u32_e32 v53, v38, v58                                // 0000000025E8: 686A7526
	buffer_load_dword v44, v2, s[32:35], 0 offen               // 0000000025EC: E0501000 80082C02
	buffer_load_dwordx4 v[128:131], v22, s[16:19], 0 offen     // 0000000025F4: E05C1000 80048016
	buffer_load_dwordx4 v[132:135], v22, s[16:19], 0 offen offset:1024// 0000000025FC: E05C1400 80048416
	buffer_load_dwordx4 v[136:139], v23, s[16:19], 0 offen     // 000000002604: E05C1000 80048817
	buffer_load_dwordx4 v[140:143], v23, s[16:19], 0 offen offset:1024// 00000000260C: E05C1400 80048C17
	buffer_load_dwordx4 v[144:147], v24, s[16:19], 0 offen     // 000000002614: E05C1000 80049018
	buffer_load_dwordx4 v[148:151], v24, s[16:19], 0 offen offset:1024// 00000000261C: E05C1400 80049418
	buffer_load_dwordx4 v[152:155], v25, s[16:19], 0 offen     // 000000002624: E05C1000 80049819
	buffer_load_dwordx4 v[156:159], v25, s[16:19], 0 offen offset:1024// 00000000262C: E05C1400 80049C19
	buffer_load_dword v55, v53, s[36:39], 0 offen              // 000000002634: E0501000 80093735
	buffer_load_dwordx4 v[192:195], v30, s[20:23], 0 offen     // 00000000263C: E05C1000 8005C01E
	buffer_load_dwordx4 v[196:199], v31, s[20:23], 0 offen     // 000000002644: E05C1000 8005C41F
	buffer_load_dwordx4 v[200:203], v32, s[20:23], 0 offen     // 00000000264C: E05C1000 8005C820
	buffer_load_dwordx4 v[204:207], v33, s[20:23], 0 offen     // 000000002654: E05C1000 8005CC21
	buffer_load_dwordx4 v[208:211], v30, s[20:23], 0 offen offset:1024// 00000000265C: E05C1400 8005D01E
	buffer_load_dwordx4 v[212:215], v31, s[20:23], 0 offen offset:1024// 000000002664: E05C1400 8005D41F
	buffer_load_dwordx4 v[216:219], v32, s[20:23], 0 offen offset:1024// 00000000266C: E05C1400 8005D820
	buffer_load_dwordx4 v[220:223], v33, s[20:23], 0 offen offset:1024// 000000002674: E05C1400 8005DC21
	v_lshrrev_b32_e32 v38, 4, v0                               // 00000000267C: 204C0084
	v_lshlrev_b32_e32 v39, 1, v38                              // 000000002680: 244E4C81
	v_and_b32_e32 v38, 15, v0                                  // 000000002684: 264C008F
	v_mul_i32_i24_e32 v38, 0x42, v38                           // 000000002688: 0C4C4CFF 00000042
	v_add_u32_e32 v39, v38, v39                                // 000000002690: 684E4F26
	v_lshlrev_b32_e32 v4, 2, v39                               // 000000002694: 24084E82
	s_mul_i32 s60, s7, 32                                      // 000000002698: 923CA007
	v_add_u32_e32 v4, s60, v4                                  // 00000000269C: 6808083C
	s_waitcnt vmcnt(16) lgkmcnt(0)                             // 0000000026A0: BF8C4070
	s_barrier                                                  // 0000000026A4: BF8A0000
	ds_read_b64 v[80:81], v4                                   // 0000000026A8: D8EC0000 50000004
	ds_read_b64 v[84:85], v4 offset:128                        // 0000000026B0: D8EC0080 54000004
	s_waitcnt lgkmcnt(0)                                       // 0000000026B8: BF8CC07F
	v_and_b32_e32 v38, 0xffff, v80                             // 0000000026BC: 264CA0FF 0000FFFF
	v_lshrrev_b32_e32 v39, 16, v80                             // 0000000026C4: 204EA090
	v_and_b32_e32 v40, 0xffff, v81                             // 0000000026C8: 2650A2FF 0000FFFF
	v_lshrrev_b32_e32 v41, 16, v81                             // 0000000026D0: 2052A290
	v_cvt_f32_f16_e32 v80, v38                                 // 0000000026D4: 7EA01726
	v_cvt_f32_f16_e32 v81, v39                                 // 0000000026D8: 7EA21727
	v_cvt_f32_f16_e32 v82, v40                                 // 0000000026DC: 7EA41728
	v_cvt_f32_f16_e32 v83, v41                                 // 0000000026E0: 7EA61729
	v_and_b32_e32 v38, 0xffff, v84                             // 0000000026E4: 264CA8FF 0000FFFF
	v_lshrrev_b32_e32 v39, 16, v84                             // 0000000026EC: 204EA890
	v_and_b32_e32 v40, 0xffff, v85                             // 0000000026F0: 2650AAFF 0000FFFF
	v_lshrrev_b32_e32 v41, 16, v85                             // 0000000026F8: 2052AA90
	v_cvt_f32_f16_e32 v84, v38                                 // 0000000026FC: 7EA81726
	v_cvt_f32_f16_e32 v85, v39                                 // 000000002700: 7EAA1727
	v_cvt_f32_f16_e32 v86, v40                                 // 000000002704: 7EAC1728
	v_cvt_f32_f16_e32 v87, v41                                 // 000000002708: 7EAE1729
	v_mov_b32_e32 v48, 0x358637bd                              // 00000000270C: 7E6002FF 358637BD
	v_max3_f32 v48, |v80|, |v81|, v48                          // 000000002714: D1D30330 04C2A350
	v_max3_f32 v48, |v82|, |v83|, v48                          // 00000000271C: D1D30330 04C2A752
	v_max3_f32 v48, |v84|, |v85|, v48                          // 000000002724: D1D30330 04C2AB54
	v_max3_f32 v48, |v86|, |v87|, v48                          // 00000000272C: D1D30330 04C2AF56
	ds_write_b32 v11, v48 offset:4224                          // 000000002734: D81A1080 0000300B
	s_waitcnt lgkmcnt(0)                                       // 00000000273C: BF8CC07F
	s_barrier                                                  // 000000002740: BF8A0000
	ds_read_b32 v64, v10 offset:4224                           // 000000002744: D86C1080 4000000A
	ds_read_b32 v65, v10 offset:4288                           // 00000000274C: D86C10C0 4100000A
	ds_read_b32 v66, v10 offset:4352                           // 000000002754: D86C1100 4200000A
	ds_read_b32 v67, v10 offset:4416                           // 00000000275C: D86C1140 4300000A
	ds_read_b32 v68, v10 offset:4480                           // 000000002764: D86C1180 4400000A
	ds_read_b32 v69, v10 offset:4544                           // 00000000276C: D86C11C0 4500000A
	ds_read_b32 v70, v10 offset:4608                           // 000000002774: D86C1200 4600000A
	ds_read_b32 v71, v10 offset:4672                           // 00000000277C: D86C1240 4700000A
	ds_read_b32 v72, v10 offset:4736                           // 000000002784: D86C1280 4800000A
	ds_read_b32 v73, v10 offset:4800                           // 00000000278C: D86C12C0 4900000A
	ds_read_b32 v74, v10 offset:4864                           // 000000002794: D86C1300 4A00000A
	ds_read_b32 v75, v10 offset:4928                           // 00000000279C: D86C1340 4B00000A
	ds_read_b32 v76, v10 offset:4992                           // 0000000027A4: D86C1380 4C00000A
	ds_read_b32 v77, v10 offset:5056                           // 0000000027AC: D86C13C0 4D00000A
	ds_read_b32 v78, v10 offset:5120                           // 0000000027B4: D86C1400 4E00000A
	ds_read_b32 v79, v10 offset:5184                           // 0000000027BC: D86C1440 4F00000A
	s_waitcnt lgkmcnt(0)                                       // 0000000027C4: BF8CC07F
	v_max3_f32 v48, |v64|, |v65|, v48                          // 0000000027C8: D1D30330 04C28340
	v_max3_f32 v48, |v66|, |v67|, v48                          // 0000000027D0: D1D30330 04C28742
	v_max3_f32 v48, |v68|, |v69|, v48                          // 0000000027D8: D1D30330 04C28B44
	v_max3_f32 v48, |v70|, |v71|, v48                          // 0000000027E0: D1D30330 04C28F46
	v_max3_f32 v48, |v72|, |v73|, v48                          // 0000000027E8: D1D30330 04C29348
	v_max3_f32 v48, |v74|, |v75|, v48                          // 0000000027F0: D1D30330 04C2974A
	v_max3_f32 v48, |v76|, |v77|, v48                          // 0000000027F8: D1D30330 04C29B4C
	v_max3_f32 v48, |v78|, |v79|, v48                          // 000000002800: D1D30330 04C29F4E
	v_rcp_f32_e32 v48, v48                                     // 000000002808: 7E604530
	s_nop 1                                                    // 00000000280C: BF800001
	v_mul_f32_e32 v48, 0x43700000, v48                         // 000000002810: 0A6060FF 43700000
	v_mul_f32_e32 v80, v48, v80                                // 000000002818: 0AA0A130
	v_mul_f32_e32 v81, v48, v81                                // 00000000281C: 0AA2A330
	v_mul_f32_e32 v82, v48, v82                                // 000000002820: 0AA4A530
	v_mul_f32_e32 v83, v48, v83                                // 000000002824: 0AA6A730
	v_mul_f32_e32 v84, v48, v84                                // 000000002828: 0AA8A930
	v_mul_f32_e32 v85, v48, v85                                // 00000000282C: 0AAAAB30
	v_mul_f32_e32 v86, v48, v86                                // 000000002830: 0AACAD30
	v_mul_f32_e32 v87, v48, v87                                // 000000002834: 0AAEAF30
	v_rcp_f32_e32 v46, v48                                     // 000000002838: 7E5C4530
	v_cvt_pk_fp8_f32 v80, v80, v81                             // 00000000283C: D2A20050 0002A350
	v_cvt_pk_fp8_f32 v80, v82, v83 op_sel:[0,0,1]              // 000000002844: D2A24050 0002A752
	v_cvt_pk_fp8_f32 v81, v84, v85                             // 00000000284C: D2A20051 0002AB54
	v_cvt_pk_fp8_f32 v81, v86, v87 op_sel:[0,0,1]              // 000000002854: D2A24051 0002AF56
	ds_write_b32 v13, v80 offset:6272                          // 00000000285C: D81A1880 0000500D
	ds_write_b32 v13, v81 offset:7296                          // 000000002864: D81A1C80 0000510D
	s_waitcnt lgkmcnt(0)                                       // 00000000286C: BF8CC07F
	s_barrier                                                  // 000000002870: BF8A0000
	v_and_b32_e32 v46, v9, v46                                 // 000000002874: 265C5D09
	ds_read_b64 v[80:81], v12 offset:6272                      // 000000002878: D8EC1880 5000000C
	ds_read_b64 v[82:83], v12 offset:6400                      // 000000002880: D8EC1900 5200000C
	ds_read_b64 v[84:85], v12 offset:7296                      // 000000002888: D8EC1C80 5400000C
	ds_read_b64 v[86:87], v12 offset:7424                      // 000000002890: D8EC1D00 5600000C
	v_mov_b32_e32 v112, 0                                      // 000000002898: 7EE00280
	v_mov_b32_e32 v113, 0                                      // 00000000289C: 7EE20280
	v_mov_b32_e32 v114, 0                                      // 0000000028A0: 7EE40280
	v_mov_b32_e32 v115, 0                                      // 0000000028A4: 7EE60280
	v_mov_b32_e32 v104, 0                                      // 0000000028A8: 7ED00280
	v_mov_b32_e32 v105, 0                                      // 0000000028AC: 7ED20280
	v_mov_b32_e32 v106, 0                                      // 0000000028B0: 7ED40280
	v_mov_b32_e32 v107, 0                                      // 0000000028B4: 7ED60280
	v_mov_b32_e32 v108, 0                                      // 0000000028B8: 7ED80280
	v_mov_b32_e32 v109, 0                                      // 0000000028BC: 7EDA0280
	v_mov_b32_e32 v110, 0                                      // 0000000028C0: 7EDC0280
	v_mov_b32_e32 v111, 0                                      // 0000000028C4: 7EDE0280
	v_or_b32_dpp v46, v46, v46 row_shr:8 row_mask:0xf bank_mask:0xf bound_ctrl:1// 0000000028C8: 285C5CFA FF09182E
	s_waitcnt vmcnt(8) lgkmcnt(0)                              // 0000000028D0: BF8C0078
	s_barrier                                                  // 0000000028D4: BF8A0000
	s_cmp_lt_u32 s73, 16                                       // 0000000028D8: BF0A9049
	s_cbranch_scc1 label_0967                                  // 0000000028DC: BF85076F
	s_cmp_lt_i32 s7, 2                                         // 0000000028E0: BF048207
	s_cbranch_scc0 label_05B2                                  // 0000000028E4: BF8403B8

00000000000028e8 <label_01FA>:
	s_waitcnt vmcnt(8) lgkmcnt(0)                              // 0000000028E8: BF8C0078
	v_mul_u32_u24_dpp v38, v17, v51 row_newbcast:0 row_mask:0xf bank_mask:0xf// 0000000028EC: 104C66FA FF015011
	v_mul_u32_u24_dpp v39, v17, v51 row_newbcast:4 row_mask:0xf bank_mask:0xf// 0000000028F4: 104E66FA FF015411
	v_mul_u32_u24_dpp v40, v17, v51 row_newbcast:8 row_mask:0xf bank_mask:0xf// 0000000028FC: 105066FA FF015811
	v_mul_u32_u24_dpp v41, v17, v51 row_newbcast:12 row_mask:0xf bank_mask:0xf// 000000002904: 105266FA FF015C11
	v_add_u32_e32 v26, v38, v6                                 // 00000000290C: 68340D26
	v_add_u32_e32 v27, v39, v6                                 // 000000002910: 68360D27
	v_add_u32_e32 v28, v40, v6                                 // 000000002914: 68380D28
	v_add_u32_e32 v29, v41, v6                                 // 000000002918: 683A0D29
	v_mul_u32_u24_dpp v38, v17, v61 quad_perm:[0,0,0,0] row_mask:0xf bank_mask:0xf// 00000000291C: 104C7AFA FF000011
	v_add_u32_e32 v3, v38, v57                                 // 000000002924: 68067326
	v_mul_u32_u24_dpp v38, v17, v61 quad_perm:[0,0,0,0] row_mask:0xf bank_mask:0xf// 000000002928: 104C7AFA FF000011
	v_add_u32_e32 v54, v38, v58                                // 000000002930: 686C7526
	v_mfma_f32_16x16x32_fp8_fp8 v[88:91], v[128:129], v[80:81], 0// 000000002934: D3F30058 0202A180
	v_mfma_f32_16x16x32_fp8_fp8 v[88:91], v[130:131], v[82:83], v[88:91]// 00000000293C: D3F30058 0562A582
	buffer_load_dwordx4 v[160:163], v26, s[16:19], 0 offen     // 000000002944: E05C1000 8004A01A
	v_mfma_f32_16x16x32_fp8_fp8 v[88:91], v[132:133], v[84:85], v[88:91]// 00000000294C: D3F30058 0562A984
	v_mfma_f32_16x16x32_fp8_fp8 v[88:91], v[134:135], v[86:87], v[88:91]// 000000002954: D3F30058 0562AD86
	buffer_load_dword v16, v1, s[24:27], 0 offen               // 00000000295C: E0501000 80061001
	v_mfma_f32_16x16x32_fp8_fp8 v[92:95], v[136:137], v[80:81], 0// 000000002964: D3F3005C 0202A188
	v_mfma_f32_16x16x32_fp8_fp8 v[92:95], v[138:139], v[82:83], v[92:95]// 00000000296C: D3F3005C 0572A58A
	buffer_load_dwordx4 v[164:167], v26, s[16:19], 0 offen offset:1024// 000000002974: E05C1400 8004A41A
	v_mfma_f32_16x16x32_fp8_fp8 v[92:95], v[140:141], v[84:85], v[92:95]// 00000000297C: D3F3005C 0572A98C
	v_mfma_f32_16x16x32_fp8_fp8 v[92:95], v[142:143], v[86:87], v[92:95]// 000000002984: D3F3005C 0572AD8E
	v_mfma_f32_16x16x32_fp8_fp8 v[96:99], v[144:145], v[80:81], 0// 00000000298C: D3F30060 0202A190
	v_mfma_f32_16x16x32_fp8_fp8 v[96:99], v[146:147], v[82:83], v[96:99]// 000000002994: D3F30060 0582A592
	buffer_load_dwordx4 v[168:171], v27, s[16:19], 0 offen     // 00000000299C: E05C1000 8004A81B
	v_mfma_f32_16x16x32_fp8_fp8 v[96:99], v[148:149], v[84:85], v[96:99]// 0000000029A4: D3F30060 0582A994
	v_mfma_f32_16x16x32_fp8_fp8 v[96:99], v[150:151], v[86:87], v[96:99]// 0000000029AC: D3F30060 0582AD96
	v_mfma_f32_16x16x32_fp8_fp8 v[100:103], v[152:153], v[80:81], 0// 0000000029B4: D3F30064 0202A198
	v_mfma_f32_16x16x32_fp8_fp8 v[100:103], v[154:155], v[82:83], v[100:103]// 0000000029BC: D3F30064 0592A59A
	buffer_load_dwordx4 v[172:175], v27, s[16:19], 0 offen offset:1024// 0000000029C4: E05C1400 8004AC1B
	v_mfma_f32_16x16x32_fp8_fp8 v[100:103], v[156:157], v[84:85], v[100:103]// 0000000029CC: D3F30064 0592A99C
	v_mfma_f32_16x16x32_fp8_fp8 v[100:103], v[158:159], v[86:87], v[100:103]// 0000000029D4: D3F30064 0592AD9E
	buffer_load_dword v45, v3, s[32:35], 0 offen               // 0000000029DC: E0501000 80082D03
	v_mov_b32_dpp v38, v44 row_shr:4 row_mask:0xf bank_mask:0xf// 0000000029E4: 7E4C02FA FF01142C
	v_mov_b32_dpp v39, v44 row_shl:4 row_mask:0xf bank_mask:0xf// 0000000029EC: 7E4E02FA FF01042C
	v_cndmask_b32_e64 v124, v44, v38, s[44:45]                 // 0000000029F4: D100007C 00B24D2C
	v_cndmask_b32_e64 v125, v39, v44, s[44:45]                 // 0000000029FC: D100007D 00B25927
	v_mov_b32_dpp v38, v55 row_shr:4 row_mask:0xf bank_mask:0xf// 000000002A04: 7E4C02FA FF011437
	v_mov_b32_dpp v39, v55 row_shl:4 row_mask:0xf bank_mask:0xf// 000000002A0C: 7E4E02FA FF010437
	v_cndmask_b32_e64 v126, v55, v38, s[44:45]                 // 000000002A14: D100007E 00B24D37
	v_cndmask_b32_e64 v127, v39, v55, s[44:45]                 // 000000002A1C: D100007F 00B26F27
	v_or_b32_dpp v88, v96, v88 row_shr:8 row_mask:0xf bank_mask:0xf bound_ctrl:1// 000000002A24: 28B0B0FA FF091860
	v_or_b32_dpp v89, v97, v89 row_shr:8 row_mask:0xf bank_mask:0xf bound_ctrl:1// 000000002A2C: 28B2B2FA FF091861
	v_or_b32_dpp v90, v98, v90 row_shr:8 row_mask:0xf bank_mask:0xf bound_ctrl:1// 000000002A34: 28B4B4FA FF091862
	v_or_b32_dpp v91, v99, v91 row_shr:8 row_mask:0xf bank_mask:0xf bound_ctrl:1// 000000002A3C: 28B6B6FA FF091863
	v_or_b32_dpp v92, v100, v92 row_shr:8 row_mask:0xf bank_mask:0xf bound_ctrl:1// 000000002A44: 28B8B8FA FF091864
	v_or_b32_dpp v93, v101, v93 row_shr:8 row_mask:0xf bank_mask:0xf bound_ctrl:1// 000000002A4C: 28BABAFA FF091865
	v_or_b32_dpp v94, v102, v94 row_shr:8 row_mask:0xf bank_mask:0xf bound_ctrl:1// 000000002A54: 28BCBCFA FF091866
	v_or_b32_dpp v95, v103, v95 row_shr:8 row_mask:0xf bank_mask:0xf bound_ctrl:1// 000000002A5C: 28BEBEFA FF091867
	buffer_load_dword v56, v54, s[36:39], 0 offen              // 000000002A64: E0501000 80093836
	v_mul_f32_e32 v88, v46, v88                                // 000000002A6C: 0AB0B12E
	v_mul_f32_e32 v89, v46, v89                                // 000000002A70: 0AB2B32E
	v_mul_f32_e32 v90, v46, v90                                // 000000002A74: 0AB4B52E
	v_mul_f32_e32 v91, v46, v91                                // 000000002A78: 0AB6B72E
	v_mul_f32_e32 v92, v46, v92                                // 000000002A7C: 0AB8B92E
	v_mul_f32_e32 v93, v46, v93                                // 000000002A80: 0ABABB2E
	v_mul_f32_e32 v94, v46, v94                                // 000000002A84: 0ABCBD2E
	v_mul_f32_e32 v95, v46, v95                                // 000000002A88: 0ABEBF2E
	buffer_load_dwordx4 v[176:179], v28, s[16:19], 0 offen     // 000000002A8C: E05C1000 8004B01C
	v_mul_f32_dpp v88, v124, v88 quad_perm:[0,0,0,0] row_mask:0xf bank_mask:0xf// 000000002A94: 0AB0B0FA FF00007C
	v_mul_f32_dpp v89, v124, v89 quad_perm:[1,1,1,1] row_mask:0xf bank_mask:0xf// 000000002A9C: 0AB2B2FA FF00557C
	v_mul_f32_dpp v90, v124, v90 quad_perm:[2,2,2,2] row_mask:0xf bank_mask:0xf// 000000002AA4: 0AB4B4FA FF00AA7C
	v_mul_f32_dpp v91, v124, v91 quad_perm:[3,3,3,3] row_mask:0xf bank_mask:0xf// 000000002AAC: 0AB6B6FA FF00FF7C
	v_mul_f32_dpp v92, v125, v92 quad_perm:[0,0,0,0] row_mask:0xf bank_mask:0xf// 000000002AB4: 0AB8B8FA FF00007D
	v_mul_f32_dpp v93, v125, v93 quad_perm:[1,1,1,1] row_mask:0xf bank_mask:0xf// 000000002ABC: 0ABABAFA FF00557D
	v_mul_f32_dpp v94, v125, v94 quad_perm:[2,2,2,2] row_mask:0xf bank_mask:0xf// 000000002AC4: 0ABCBCFA FF00AA7D
	v_mul_f32_dpp v95, v125, v95 quad_perm:[3,3,3,3] row_mask:0xf bank_mask:0xf// 000000002ACC: 0ABEBEFA FF00FF7D
	buffer_load_dwordx4 v[180:183], v28, s[16:19], 0 offen offset:1024// 000000002AD4: E05C1400 8004B41C
	v_mov_b32_e32 v48, v88                                     // 000000002ADC: 7E600358
	v_max3_f32 v48, v88, v89, v48                              // 000000002AE0: D1D30030 04C2B358
	v_max3_f32 v48, v90, v91, v48                              // 000000002AE8: D1D30030 04C2B75A
	v_max3_f32 v48, v92, v93, v48                              // 000000002AF0: D1D30030 04C2BB5C
	v_max3_f32 v48, v94, v95, v48                              // 000000002AF8: D1D30030 04C2BF5E
	ds_write_b32 v11, v48 offset:4224                          // 000000002B00: D81A1080 0000300B
	buffer_load_dwordx4 v[184:187], v29, s[16:19], 0 offen     // 000000002B08: E05C1000 8004B81D
	v_mul_u32_u24_dpp v38, v17, v51 row_newbcast:1 row_mask:0xf bank_mask:0xf// 000000002B10: 104C66FA FF015111
	v_mul_u32_u24_dpp v39, v17, v51 row_newbcast:5 row_mask:0xf bank_mask:0xf// 000000002B18: 104E66FA FF015511
	v_mul_u32_u24_dpp v40, v17, v51 row_newbcast:9 row_mask:0xf bank_mask:0xf// 000000002B20: 105066FA FF015911
	v_mul_u32_u24_dpp v41, v17, v51 row_newbcast:13 row_mask:0xf bank_mask:0xf// 000000002B28: 105266FA FF015D11
	v_add_u32_e32 v34, v38, v7                                 // 000000002B30: 68440F26
	v_add_u32_e32 v35, v39, v7                                 // 000000002B34: 68460F27
	v_add_u32_e32 v36, v40, v7                                 // 000000002B38: 68480F28
	v_add_u32_e32 v37, v41, v7                                 // 000000002B3C: 684A0F29
	s_waitcnt lgkmcnt(0)                                       // 000000002B40: BF8CC07F
	s_barrier                                                  // 000000002B44: BF8A0000
	ds_read_b32 v64, v10 offset:4224                           // 000000002B48: D86C1080 4000000A
	ds_read_b32 v65, v10 offset:4288                           // 000000002B50: D86C10C0 4100000A
	ds_read_b32 v66, v10 offset:4352                           // 000000002B58: D86C1100 4200000A
	ds_read_b32 v67, v10 offset:4416                           // 000000002B60: D86C1140 4300000A
	ds_read_b32 v68, v10 offset:4480                           // 000000002B68: D86C1180 4400000A
	ds_read_b32 v69, v10 offset:4544                           // 000000002B70: D86C11C0 4500000A
	ds_read_b32 v70, v10 offset:4608                           // 000000002B78: D86C1200 4600000A
	ds_read_b32 v71, v10 offset:4672                           // 000000002B80: D86C1240 4700000A
	ds_read_b32 v72, v10 offset:4736                           // 000000002B88: D86C1280 4800000A
	ds_read_b32 v73, v10 offset:4800                           // 000000002B90: D86C12C0 4900000A
	ds_read_b32 v74, v10 offset:4864                           // 000000002B98: D86C1300 4A00000A
	ds_read_b32 v75, v10 offset:4928                           // 000000002BA0: D86C1340 4B00000A
	ds_read_b32 v76, v10 offset:4992                           // 000000002BA8: D86C1380 4C00000A
	ds_read_b32 v77, v10 offset:5056                           // 000000002BB0: D86C13C0 4D00000A
	ds_read_b32 v78, v10 offset:5120                           // 000000002BB8: D86C1400 4E00000A
	ds_read_b32 v79, v10 offset:5184                           // 000000002BC0: D86C1440 4F00000A
	buffer_load_dwordx4 v[188:191], v29, s[16:19], 0 offen offset:1024// 000000002BC8: E05C1400 8004BC1D
	v_mul_f32_e32 v112, v49, v112                              // 000000002BD0: 0AE0E131
	v_mul_f32_e32 v113, v49, v113                              // 000000002BD4: 0AE2E331
	v_mul_f32_e32 v114, v49, v114                              // 000000002BD8: 0AE4E531
	v_mul_f32_e32 v115, v49, v115                              // 000000002BDC: 0AE6E731
	v_or_b32_dpp v104, v108, v104 row_shr:8 row_mask:0xf bank_mask:0xf bound_ctrl:1// 000000002BE0: 28D0D0FA FF09186C
	v_or_b32_dpp v105, v109, v105 row_shr:8 row_mask:0xf bank_mask:0xf bound_ctrl:1// 000000002BE8: 28D2D2FA FF09186D
	v_or_b32_dpp v106, v110, v106 row_shr:8 row_mask:0xf bank_mask:0xf bound_ctrl:1// 000000002BF0: 28D4D4FA FF09186E
	v_or_b32_dpp v107, v111, v107 row_shr:8 row_mask:0xf bank_mask:0xf bound_ctrl:1// 000000002BF8: 28D6D6FA FF09186F
	s_waitcnt lgkmcnt(0)                                       // 000000002C00: BF8CC07F
	v_max3_f32 v48, v64, v65, v48                              // 000000002C04: D1D30030 04C28340
	v_max3_f32 v48, v66, v67, v48                              // 000000002C0C: D1D30030 04C28742
	v_max3_f32 v48, v68, v69, v48                              // 000000002C14: D1D30030 04C28B44
	v_max3_f32 v48, v70, v71, v48                              // 000000002C1C: D1D30030 04C28F46
	v_max3_f32 v48, v72, v73, v48                              // 000000002C24: D1D30030 04C29348
	v_max3_f32 v48, v74, v75, v48                              // 000000002C2C: D1D30030 04C2974A
	v_max3_f32 v48, v76, v77, v48                              // 000000002C34: D1D30030 04C29B4C
	v_max3_f32 v48, v78, v79, v48                              // 000000002C3C: D1D30030 04C29F4E
	buffer_load_dwordx4 v[224:227], v34, s[20:23], 0 offen     // 000000002C44: E05C1000 8005E022
	v_cmp_eq_u32_e64 s[40:41], v52, v14                        // 000000002C4C: D0CA0028 00021D34
	s_nop 1                                                    // 000000002C54: BF800001
	v_mov_b32_dpp v38, v48 row_ror:8 row_mask:0xf bank_mask:0xf// 000000002C58: 7E4C02FA FF012830
	v_max_f32_e32 v48, v48, v38                                // 000000002C60: 16604D30
	v_max_f32_e32 v15, v48, v14                                // 000000002C64: 161E1D30
	v_mul_f32_e32 v50, s64, v15                                // 000000002C68: 0A641E40
	v_fma_f32 v88, v88, s64, -v50                              // 000000002C6C: D1CB0058 84C88158
	v_fma_f32 v89, v89, s64, -v50                              // 000000002C74: D1CB0059 84C88159
	v_fma_f32 v90, v90, s64, -v50                              // 000000002C7C: D1CB005A 84C8815A
	v_fma_f32 v91, v91, s64, -v50                              // 000000002C84: D1CB005B 84C8815B
	v_fma_f32 v92, v92, s64, -v50                              // 000000002C8C: D1CB005C 84C8815C
	v_fma_f32 v93, v93, s64, -v50                              // 000000002C94: D1CB005D 84C8815D
	v_fma_f32 v94, v94, s64, -v50                              // 000000002C9C: D1CB005E 84C8815E
	v_fma_f32 v95, v95, s64, -v50                              // 000000002CA4: D1CB005F 84C8815F
	buffer_load_dwordx4 v[228:231], v35, s[20:23], 0 offen     // 000000002CAC: E05C1000 8005E423
	v_exp_f32_e32 v88, v88                                     // 000000002CB4: 7EB04158
	v_exp_f32_e32 v89, v89                                     // 000000002CB8: 7EB24159
	v_exp_f32_e32 v90, v90                                     // 000000002CBC: 7EB4415A
	v_exp_f32_e32 v91, v91                                     // 000000002CC0: 7EB6415B
	v_exp_f32_e32 v92, v92                                     // 000000002CC4: 7EB8415C
	v_exp_f32_e32 v93, v93                                     // 000000002CC8: 7EBA415D
	v_exp_f32_e32 v94, v94                                     // 000000002CCC: 7EBC415E
	v_exp_f32_e32 v95, v95                                     // 000000002CD0: 7EBE415F
	buffer_load_dwordx4 v[232:235], v36, s[20:23], 0 offen     // 000000002CD4: E05C1000 8005E824
	v_mul_f32_dpp v116, v126, v88 quad_perm:[0,0,0,0] row_mask:0xf bank_mask:0xf// 000000002CDC: 0AE8B0FA FF00007E
	v_mul_f32_dpp v117, v126, v89 quad_perm:[1,1,1,1] row_mask:0xf bank_mask:0xf// 000000002CE4: 0AEAB2FA FF00557E
	v_mul_f32_dpp v118, v126, v90 quad_perm:[2,2,2,2] row_mask:0xf bank_mask:0xf// 000000002CEC: 0AECB4FA FF00AA7E
	v_mul_f32_dpp v119, v126, v91 quad_perm:[3,3,3,3] row_mask:0xf bank_mask:0xf// 000000002CF4: 0AEEB6FA FF00FF7E
	v_mul_f32_dpp v120, v127, v92 quad_perm:[0,0,0,0] row_mask:0xf bank_mask:0xf// 000000002CFC: 0AF0B8FA FF00007F
	v_mul_f32_dpp v121, v127, v93 quad_perm:[1,1,1,1] row_mask:0xf bank_mask:0xf// 000000002D04: 0AF2BAFA FF00557F
	v_mul_f32_dpp v122, v127, v94 quad_perm:[2,2,2,2] row_mask:0xf bank_mask:0xf// 000000002D0C: 0AF4BCFA FF00AA7F
	v_mul_f32_dpp v123, v127, v95 quad_perm:[3,3,3,3] row_mask:0xf bank_mask:0xf// 000000002D14: 0AF6BEFA FF00FF7F
	v_mov_b32_e32 v48, 0x358637bd                              // 000000002D1C: 7E6002FF 358637BD
	v_max3_f32 v48, |v116|, |v117|, v48                        // 000000002D24: D1D30330 04C2EB74
	v_max3_f32 v48, |v118|, |v119|, v48                        // 000000002D2C: D1D30330 04C2EF76
	v_max3_f32 v48, |v120|, |v121|, v48                        // 000000002D34: D1D30330 04C2F378
	v_max3_f32 v48, |v122|, |v123|, v48                        // 000000002D3C: D1D30330 04C2F77A
	buffer_load_dwordx4 v[236:239], v37, s[20:23], 0 offen     // 000000002D44: E05C1000 8005EC25
	ds_write_b32 v11, v48 offset:5248                          // 000000002D4C: D81A1480 0000300B
	v_sub_f32_e32 v49, v14, v15                                // 000000002D54: 04621F0E
	v_cndmask_b32_e64 v49, v49, 0, s[40:41]                    // 000000002D58: D1000031 00A10131
	v_mov_b32_e32 v14, v15                                     // 000000002D60: 7E1C030F
	v_mul_f32_e32 v49, s64, v49                                // 000000002D64: 0A626240
	v_exp_f32_e32 v49, v49                                     // 000000002D68: 7E624131
	s_waitcnt lgkmcnt(0)                                       // 000000002D6C: BF8CC07F
	s_barrier                                                  // 000000002D70: BF8A0000
	ds_read_b32 v64, v10 offset:5248                           // 000000002D74: D86C1480 4000000A
	ds_read_b32 v65, v10 offset:5312                           // 000000002D7C: D86C14C0 4100000A
	ds_read_b32 v66, v10 offset:5376                           // 000000002D84: D86C1500 4200000A
	ds_read_b32 v67, v10 offset:5440                           // 000000002D8C: D86C1540 4300000A
	ds_read_b32 v68, v10 offset:5504                           // 000000002D94: D86C1580 4400000A
	ds_read_b32 v69, v10 offset:5568                           // 000000002D9C: D86C15C0 4500000A
	ds_read_b32 v70, v10 offset:5632                           // 000000002DA4: D86C1600 4600000A
	ds_read_b32 v71, v10 offset:5696                           // 000000002DAC: D86C1640 4700000A
	ds_read_b32 v72, v10 offset:5760                           // 000000002DB4: D86C1680 4800000A
	ds_read_b32 v73, v10 offset:5824                           // 000000002DBC: D86C16C0 4900000A
	ds_read_b32 v74, v10 offset:5888                           // 000000002DC4: D86C1700 4A00000A
	ds_read_b32 v75, v10 offset:5952                           // 000000002DCC: D86C1740 4B00000A
	ds_read_b32 v76, v10 offset:6016                           // 000000002DD4: D86C1780 4C00000A
	ds_read_b32 v77, v10 offset:6080                           // 000000002DDC: D86C17C0 4D00000A
	ds_read_b32 v78, v10 offset:6144                           // 000000002DE4: D86C1800 4E00000A
	ds_read_b32 v79, v10 offset:6208                           // 000000002DEC: D86C1840 4F00000A
	v_mul_f32_e32 v42, v49, v42                                // 000000002DF4: 0A545531
	v_mov_b32_e32 v43, v88                                     // 000000002DF8: 7E560358
	v_add_f32_e32 v43, v89, v43                                // 000000002DFC: 02565759
	v_add_f32_e32 v43, v90, v43                                // 000000002E00: 0256575A
	v_add_f32_e32 v43, v91, v43                                // 000000002E04: 0256575B
	v_add_f32_e32 v43, v92, v43                                // 000000002E08: 0256575C
	v_add_f32_e32 v43, v93, v43                                // 000000002E0C: 0256575D
	v_add_f32_e32 v43, v94, v43                                // 000000002E10: 0256575E
	v_add_f32_e32 v43, v95, v43                                // 000000002E14: 0256575F
	v_add_f32_e32 v42, v43, v42                                // 000000002E18: 0254552B
	s_waitcnt lgkmcnt(0)                                       // 000000002E1C: BF8CC07F
	v_max3_f32 v48, |v64|, |v65|, v48                          // 000000002E20: D1D30330 04C28340
	v_max3_f32 v48, |v66|, |v67|, v48                          // 000000002E28: D1D30330 04C28742
	v_max3_f32 v48, |v68|, |v69|, v48                          // 000000002E30: D1D30330 04C28B44
	v_max3_f32 v48, |v70|, |v71|, v48                          // 000000002E38: D1D30330 04C28F46
	v_max3_f32 v48, |v72|, |v73|, v48                          // 000000002E40: D1D30330 04C29348
	v_max3_f32 v48, |v74|, |v75|, v48                          // 000000002E48: D1D30330 04C2974A
	v_max3_f32 v48, |v76|, |v77|, v48                          // 000000002E50: D1D30330 04C29B4C
	v_max3_f32 v48, |v78|, |v79|, v48                          // 000000002E58: D1D30330 04C29F4E
	s_nop 2                                                    // 000000002E60: BF800002
	v_mov_b32_dpp v38, v48 row_ror:8 row_mask:0xf bank_mask:0xf// 000000002E64: 7E4C02FA FF012830
	v_max_f32_e32 v48, v48, v38                                // 000000002E6C: 16604D30
	v_rcp_f32_e32 v48, v48                                     // 000000002E70: 7E604530
	s_nop 1                                                    // 000000002E74: BF800001
	v_mul_f32_e32 v48, 0x43700000, v48                         // 000000002E78: 0A6060FF 43700000
	v_mul_f32_e32 v88, v48, v116                               // 000000002E80: 0AB0E930
	v_mul_f32_e32 v89, v48, v117                               // 000000002E84: 0AB2EB30
	v_mul_f32_e32 v90, v48, v118                               // 000000002E88: 0AB4ED30
	v_mul_f32_e32 v91, v48, v119                               // 000000002E8C: 0AB6EF30
	v_mul_f32_e32 v92, v48, v120                               // 000000002E90: 0AB8F130
	v_mul_f32_e32 v93, v48, v121                               // 000000002E94: 0ABAF330
	v_mul_f32_e32 v94, v48, v122                               // 000000002E98: 0ABCF530
	v_mul_f32_e32 v95, v48, v123                               // 000000002E9C: 0ABEF730
	v_cvt_pk_fp8_f32 v88, v88, v89                             // 000000002EA0: D2A20058 0002B358
	v_cvt_pk_fp8_f32 v88, v90, v91 op_sel:[0,0,1]              // 000000002EA8: D2A24058 0002B75A
	v_cvt_pk_fp8_f32 v89, v92, v93                             // 000000002EB0: D2A20059 0002BB5C
	v_cvt_pk_fp8_f32 v89, v94, v95 op_sel:[0,0,1]              // 000000002EB8: D2A24059 0002BF5E
	ds_write_b32 v13, v88 offset:6272                          // 000000002EC0: D81A1880 0000580D
	ds_write_b32 v13, v89 offset:7296                          // 000000002EC8: D81A1C80 0000590D
	v_mul_f32_e32 v104, v47, v104                              // 000000002ED0: 0AD0D12F
	v_mul_f32_e32 v105, v47, v105                              // 000000002ED4: 0AD2D32F
	v_mul_f32_e32 v106, v47, v106                              // 000000002ED8: 0AD4D52F
	v_mul_f32_e32 v107, v47, v107                              // 000000002EDC: 0AD6D72F
	v_rcp_f32_e32 v47, v48                                     // 000000002EE0: 7E5E4530
	s_waitcnt lgkmcnt(0)                                       // 000000002EE4: BF8CC07F
	s_barrier                                                  // 000000002EE8: BF8A0000
	ds_read_b64 v[88:89], v12 offset:6272                      // 000000002EEC: D8EC1880 5800000C
	ds_read_b64 v[90:91], v12 offset:6400                      // 000000002EF4: D8EC1900 5A00000C
	ds_read_b64 v[92:93], v12 offset:7296                      // 000000002EFC: D8EC1C80 5C00000C
	ds_read_b64 v[94:95], v12 offset:7424                      // 000000002F04: D8EC1D00 5E00000C
	v_add_f32_e32 v112, v112, v104                             // 000000002F0C: 02E0D170
	v_add_f32_e32 v113, v113, v105                             // 000000002F10: 02E2D371
	v_add_f32_e32 v114, v114, v106                             // 000000002F14: 02E4D572
	v_add_f32_e32 v115, v115, v107                             // 000000002F18: 02E6D773
	s_waitcnt lgkmcnt(3)                                       // 000000002F1C: BF8CC37F
	v_mov_b32_dpp v96, v88 row_shl:8 row_mask:0xf bank_mask:0xf bound_ctrl:1// 000000002F20: 7EC002FA FF090858
	v_and_b32_e32 v88, v88, v9                                 // 000000002F28: 26B01358
	v_mov_b32_dpp v97, v89 row_shl:8 row_mask:0xf bank_mask:0xf bound_ctrl:1// 000000002F2C: 7EC202FA FF090859
	v_and_b32_e32 v89, v89, v9                                 // 000000002F34: 26B21359
	s_waitcnt lgkmcnt(2)                                       // 000000002F38: BF8CC27F
	v_mov_b32_dpp v98, v90 row_shl:8 row_mask:0xf bank_mask:0xf bound_ctrl:1// 000000002F3C: 7EC402FA FF09085A
	v_and_b32_e32 v90, v90, v9                                 // 000000002F44: 26B4135A
	v_mov_b32_dpp v99, v91 row_shl:8 row_mask:0xf bank_mask:0xf bound_ctrl:1// 000000002F48: 7EC602FA FF09085B
	v_and_b32_e32 v91, v91, v9                                 // 000000002F50: 26B6135B
	s_waitcnt lgkmcnt(1)                                       // 000000002F54: BF8CC17F
	v_mov_b32_dpp v100, v92 row_shl:8 row_mask:0xf bank_mask:0xf bound_ctrl:1// 000000002F58: 7EC802FA FF09085C
	v_and_b32_e32 v92, v92, v9                                 // 000000002F60: 26B8135C
	v_mov_b32_dpp v101, v93 row_shl:8 row_mask:0xf bank_mask:0xf bound_ctrl:1// 000000002F64: 7ECA02FA FF09085D
	v_and_b32_e32 v93, v93, v9                                 // 000000002F6C: 26BA135D
	s_waitcnt lgkmcnt(0)                                       // 000000002F70: BF8CC07F
	v_mov_b32_dpp v102, v94 row_shl:8 row_mask:0xf bank_mask:0xf bound_ctrl:1// 000000002F74: 7ECC02FA FF09085E
	v_and_b32_e32 v94, v94, v9                                 // 000000002F7C: 26BC135E
	v_mov_b32_dpp v103, v95 row_shl:8 row_mask:0xf bank_mask:0xf bound_ctrl:1// 000000002F80: 7ECE02FA FF09085F
	v_and_b32_e32 v95, v95, v9                                 // 000000002F88: 26BE135F
	s_waitcnt vmcnt(15)                                        // 000000002F8C: BF8C0F7F
	v_mfma_f32_16x16x32_fp8_fp8 v[104:107], v[192:193], v[88:89], 0// 000000002F90: D3F30068 0202B1C0
	v_mfma_f32_16x16x32_fp8_fp8 v[104:107], v[194:195], v[90:91], v[104:107]// 000000002F98: D3F30068 05A2B5C2
	buffer_load_dwordx4 v[240:243], v34, s[20:23], 0 offen offset:1024// 000000002FA0: E05C1400 8005F022
	v_mfma_f32_16x16x32_fp8_fp8 v[104:107], v[196:197], v[92:93], v[104:107]// 000000002FA8: D3F30068 05A2B9C4
	v_mfma_f32_16x16x32_fp8_fp8 v[104:107], v[198:199], v[94:95], v[104:107]// 000000002FB0: D3F30068 05A2BDC6
	v_mfma_f32_16x16x32_fp8_fp8 v[104:107], v[200:201], v[96:97], v[104:107]// 000000002FB8: D3F30068 05A2C1C8
	v_mfma_f32_16x16x32_fp8_fp8 v[104:107], v[202:203], v[98:99], v[104:107]// 000000002FC0: D3F30068 05A2C5CA
	buffer_load_dwordx4 v[244:247], v35, s[20:23], 0 offen offset:1024// 000000002FC8: E05C1400 8005F423
	v_mfma_f32_16x16x32_fp8_fp8 v[104:107], v[204:205], v[100:101], v[104:107]// 000000002FD0: D3F30068 05A2C9CC
	v_mfma_f32_16x16x32_fp8_fp8 v[104:107], v[206:207], v[102:103], v[104:107]// 000000002FD8: D3F30068 05A2CDCE
	v_mfma_f32_16x16x32_fp8_fp8 v[108:111], v[208:209], v[88:89], 0// 000000002FE0: D3F3006C 0202B1D0
	v_mfma_f32_16x16x32_fp8_fp8 v[108:111], v[210:211], v[90:91], v[108:111]// 000000002FE8: D3F3006C 05B2B5D2
	buffer_load_dwordx4 v[248:251], v36, s[20:23], 0 offen offset:1024// 000000002FF0: E05C1400 8005F824
	v_mfma_f32_16x16x32_fp8_fp8 v[108:111], v[212:213], v[92:93], v[108:111]// 000000002FF8: D3F3006C 05B2B9D4
	v_mfma_f32_16x16x32_fp8_fp8 v[108:111], v[214:215], v[94:95], v[108:111]// 000000003000: D3F3006C 05B2BDD6
	v_mfma_f32_16x16x32_fp8_fp8 v[108:111], v[216:217], v[96:97], v[108:111]// 000000003008: D3F3006C 05B2C1D8
	v_mfma_f32_16x16x32_fp8_fp8 v[108:111], v[218:219], v[98:99], v[108:111]// 000000003010: D3F3006C 05B2C5DA
	buffer_load_dwordx4 v[252:255], v37, s[20:23], 0 offen offset:1024// 000000003018: E05C1400 8005FC25
	v_mfma_f32_16x16x32_fp8_fp8 v[108:111], v[220:221], v[100:101], v[108:111]// 000000003020: D3F3006C 05B2C9DC
	s_lshr_b32 s57, s70, 4                                     // 000000003028: 8F398446
	s_add_u32 s57, 48, s57                                     // 00000000302C: 803939B0
	v_mfma_f32_16x16x32_fp8_fp8 v[108:111], v[222:223], v[102:103], v[108:111]// 000000003030: D3F3006C 05B2CDDE
	s_cmp_ge_u32 s57, s73                                      // 000000003038: BF094939
	s_cselect_b32 s56, 0, s56                                  // 00000000303C: 85383880
	v_add_u32_e32 v1, s56, v1                                  // 000000003040: 68020238
	s_addk_i32 s70, 0x100                                      // 000000003044: B7460100
	s_cmp_lt_i32 s70, s71                                      // 000000003048: BF044746
	s_cbranch_scc0 label_05AF                                  // 00000000304C: BF8401DB
	s_waitcnt vmcnt(8) lgkmcnt(0)                              // 000000003050: BF8C0078
	v_mul_u32_u24_dpp v38, v16, v51 row_newbcast:0 row_mask:0xf bank_mask:0xf// 000000003054: 104C66FA FF015010
	v_mul_u32_u24_dpp v39, v16, v51 row_newbcast:4 row_mask:0xf bank_mask:0xf// 00000000305C: 104E66FA FF015410
	v_mul_u32_u24_dpp v40, v16, v51 row_newbcast:8 row_mask:0xf bank_mask:0xf// 000000003064: 105066FA FF015810
	v_mul_u32_u24_dpp v41, v16, v51 row_newbcast:12 row_mask:0xf bank_mask:0xf// 00000000306C: 105266FA FF015C10
	v_add_u32_e32 v22, v38, v6                                 // 000000003074: 682C0D26
	v_add_u32_e32 v23, v39, v6                                 // 000000003078: 682E0D27
	v_add_u32_e32 v24, v40, v6                                 // 00000000307C: 68300D28
	v_add_u32_e32 v25, v41, v6                                 // 000000003080: 68320D29
	v_mul_u32_u24_dpp v38, v16, v61 quad_perm:[0,0,0,0] row_mask:0xf bank_mask:0xf// 000000003084: 104C7AFA FF000010
	v_add_u32_e32 v2, v38, v57                                 // 00000000308C: 68047326
	v_mul_u32_u24_dpp v38, v16, v61 quad_perm:[0,0,0,0] row_mask:0xf bank_mask:0xf// 000000003090: 104C7AFA FF000010
	v_add_u32_e32 v53, v38, v58                                // 000000003098: 686A7526
	v_mfma_f32_16x16x32_fp8_fp8 v[88:91], v[160:161], v[80:81], 0// 00000000309C: D3F30058 0202A1A0
	v_mfma_f32_16x16x32_fp8_fp8 v[88:91], v[162:163], v[82:83], v[88:91]// 0000000030A4: D3F30058 0562A5A2
	buffer_load_dwordx4 v[128:131], v22, s[16:19], 0 offen     // 0000000030AC: E05C1000 80048016
	v_mfma_f32_16x16x32_fp8_fp8 v[88:91], v[164:165], v[84:85], v[88:91]// 0000000030B4: D3F30058 0562A9A4
	v_mfma_f32_16x16x32_fp8_fp8 v[88:91], v[166:167], v[86:87], v[88:91]// 0000000030BC: D3F30058 0562ADA6
	buffer_load_dword v17, v1, s[24:27], 0 offen               // 0000000030C4: E0501000 80061101
	v_mfma_f32_16x16x32_fp8_fp8 v[92:95], v[168:169], v[80:81], 0// 0000000030CC: D3F3005C 0202A1A8
	v_mfma_f32_16x16x32_fp8_fp8 v[92:95], v[170:171], v[82:83], v[92:95]// 0000000030D4: D3F3005C 0572A5AA
	buffer_load_dwordx4 v[132:135], v22, s[16:19], 0 offen offset:1024// 0000000030DC: E05C1400 80048416
	v_mfma_f32_16x16x32_fp8_fp8 v[92:95], v[172:173], v[84:85], v[92:95]// 0000000030E4: D3F3005C 0572A9AC
	v_mfma_f32_16x16x32_fp8_fp8 v[92:95], v[174:175], v[86:87], v[92:95]// 0000000030EC: D3F3005C 0572ADAE
	v_mfma_f32_16x16x32_fp8_fp8 v[96:99], v[176:177], v[80:81], 0// 0000000030F4: D3F30060 0202A1B0
	v_mfma_f32_16x16x32_fp8_fp8 v[96:99], v[178:179], v[82:83], v[96:99]// 0000000030FC: D3F30060 0582A5B2
	buffer_load_dwordx4 v[136:139], v23, s[16:19], 0 offen     // 000000003104: E05C1000 80048817
	v_mfma_f32_16x16x32_fp8_fp8 v[96:99], v[180:181], v[84:85], v[96:99]// 00000000310C: D3F30060 0582A9B4
	v_mfma_f32_16x16x32_fp8_fp8 v[96:99], v[182:183], v[86:87], v[96:99]// 000000003114: D3F30060 0582ADB6
	v_mfma_f32_16x16x32_fp8_fp8 v[100:103], v[184:185], v[80:81], 0// 00000000311C: D3F30064 0202A1B8
	v_mfma_f32_16x16x32_fp8_fp8 v[100:103], v[186:187], v[82:83], v[100:103]// 000000003124: D3F30064 0592A5BA
	buffer_load_dwordx4 v[140:143], v23, s[16:19], 0 offen offset:1024// 00000000312C: E05C1400 80048C17
	v_mfma_f32_16x16x32_fp8_fp8 v[100:103], v[188:189], v[84:85], v[100:103]// 000000003134: D3F30064 0592A9BC
	v_mfma_f32_16x16x32_fp8_fp8 v[100:103], v[190:191], v[86:87], v[100:103]// 00000000313C: D3F30064 0592ADBE
	buffer_load_dword v44, v2, s[32:35], 0 offen               // 000000003144: E0501000 80082C02
	v_mov_b32_dpp v38, v45 row_shr:4 row_mask:0xf bank_mask:0xf// 00000000314C: 7E4C02FA FF01142D
	v_mov_b32_dpp v39, v45 row_shl:4 row_mask:0xf bank_mask:0xf// 000000003154: 7E4E02FA FF01042D
	v_cndmask_b32_e64 v124, v45, v38, s[44:45]                 // 00000000315C: D100007C 00B24D2D
	v_cndmask_b32_e64 v125, v39, v45, s[44:45]                 // 000000003164: D100007D 00B25B27
	v_mov_b32_dpp v38, v56 row_shr:4 row_mask:0xf bank_mask:0xf// 00000000316C: 7E4C02FA FF011438
	v_mov_b32_dpp v39, v56 row_shl:4 row_mask:0xf bank_mask:0xf// 000000003174: 7E4E02FA FF010438
	v_cndmask_b32_e64 v126, v56, v38, s[44:45]                 // 00000000317C: D100007E 00B24D38
	v_cndmask_b32_e64 v127, v39, v56, s[44:45]                 // 000000003184: D100007F 00B27127
	v_or_b32_dpp v88, v96, v88 row_shr:8 row_mask:0xf bank_mask:0xf bound_ctrl:1// 00000000318C: 28B0B0FA FF091860
	v_or_b32_dpp v89, v97, v89 row_shr:8 row_mask:0xf bank_mask:0xf bound_ctrl:1// 000000003194: 28B2B2FA FF091861
	v_or_b32_dpp v90, v98, v90 row_shr:8 row_mask:0xf bank_mask:0xf bound_ctrl:1// 00000000319C: 28B4B4FA FF091862
	v_or_b32_dpp v91, v99, v91 row_shr:8 row_mask:0xf bank_mask:0xf bound_ctrl:1// 0000000031A4: 28B6B6FA FF091863
	v_or_b32_dpp v92, v100, v92 row_shr:8 row_mask:0xf bank_mask:0xf bound_ctrl:1// 0000000031AC: 28B8B8FA FF091864
	v_or_b32_dpp v93, v101, v93 row_shr:8 row_mask:0xf bank_mask:0xf bound_ctrl:1// 0000000031B4: 28BABAFA FF091865
	v_or_b32_dpp v94, v102, v94 row_shr:8 row_mask:0xf bank_mask:0xf bound_ctrl:1// 0000000031BC: 28BCBCFA FF091866
	v_or_b32_dpp v95, v103, v95 row_shr:8 row_mask:0xf bank_mask:0xf bound_ctrl:1// 0000000031C4: 28BEBEFA FF091867
	buffer_load_dword v55, v53, s[36:39], 0 offen              // 0000000031CC: E0501000 80093735
	v_mul_f32_e32 v88, v46, v88                                // 0000000031D4: 0AB0B12E
	v_mul_f32_e32 v89, v46, v89                                // 0000000031D8: 0AB2B32E
	v_mul_f32_e32 v90, v46, v90                                // 0000000031DC: 0AB4B52E
	v_mul_f32_e32 v91, v46, v91                                // 0000000031E0: 0AB6B72E
	v_mul_f32_e32 v92, v46, v92                                // 0000000031E4: 0AB8B92E
	v_mul_f32_e32 v93, v46, v93                                // 0000000031E8: 0ABABB2E
	v_mul_f32_e32 v94, v46, v94                                // 0000000031EC: 0ABCBD2E
	v_mul_f32_e32 v95, v46, v95                                // 0000000031F0: 0ABEBF2E
	buffer_load_dwordx4 v[144:147], v24, s[16:19], 0 offen     // 0000000031F4: E05C1000 80049018
	v_mul_f32_dpp v88, v124, v88 quad_perm:[0,0,0,0] row_mask:0xf bank_mask:0xf// 0000000031FC: 0AB0B0FA FF00007C
	v_mul_f32_dpp v89, v124, v89 quad_perm:[1,1,1,1] row_mask:0xf bank_mask:0xf// 000000003204: 0AB2B2FA FF00557C
	v_mul_f32_dpp v90, v124, v90 quad_perm:[2,2,2,2] row_mask:0xf bank_mask:0xf// 00000000320C: 0AB4B4FA FF00AA7C
	v_mul_f32_dpp v91, v124, v91 quad_perm:[3,3,3,3] row_mask:0xf bank_mask:0xf// 000000003214: 0AB6B6FA FF00FF7C
	v_mul_f32_dpp v92, v125, v92 quad_perm:[0,0,0,0] row_mask:0xf bank_mask:0xf// 00000000321C: 0AB8B8FA FF00007D
	v_mul_f32_dpp v93, v125, v93 quad_perm:[1,1,1,1] row_mask:0xf bank_mask:0xf// 000000003224: 0ABABAFA FF00557D
	v_mul_f32_dpp v94, v125, v94 quad_perm:[2,2,2,2] row_mask:0xf bank_mask:0xf// 00000000322C: 0ABCBCFA FF00AA7D
	v_mul_f32_dpp v95, v125, v95 quad_perm:[3,3,3,3] row_mask:0xf bank_mask:0xf// 000000003234: 0ABEBEFA FF00FF7D
	buffer_load_dwordx4 v[148:151], v24, s[16:19], 0 offen offset:1024// 00000000323C: E05C1400 80049418
	v_mov_b32_e32 v48, v88                                     // 000000003244: 7E600358
	v_max3_f32 v48, v88, v89, v48                              // 000000003248: D1D30030 04C2B358
	v_max3_f32 v48, v90, v91, v48                              // 000000003250: D1D30030 04C2B75A
	v_max3_f32 v48, v92, v93, v48                              // 000000003258: D1D30030 04C2BB5C
	v_max3_f32 v48, v94, v95, v48                              // 000000003260: D1D30030 04C2BF5E
	ds_write_b32 v11, v48 offset:4224                          // 000000003268: D81A1080 0000300B
	buffer_load_dwordx4 v[152:155], v25, s[16:19], 0 offen     // 000000003270: E05C1000 80049819
	v_mul_u32_u24_dpp v38, v16, v51 row_newbcast:1 row_mask:0xf bank_mask:0xf// 000000003278: 104C66FA FF015110
	v_mul_u32_u24_dpp v39, v16, v51 row_newbcast:5 row_mask:0xf bank_mask:0xf// 000000003280: 104E66FA FF015510
	v_mul_u32_u24_dpp v40, v16, v51 row_newbcast:9 row_mask:0xf bank_mask:0xf// 000000003288: 105066FA FF015910
	v_mul_u32_u24_dpp v41, v16, v51 row_newbcast:13 row_mask:0xf bank_mask:0xf// 000000003290: 105266FA FF015D10
	v_add_u32_e32 v30, v38, v7                                 // 000000003298: 683C0F26
	v_add_u32_e32 v31, v39, v7                                 // 00000000329C: 683E0F27
	v_add_u32_e32 v32, v40, v7                                 // 0000000032A0: 68400F28
	v_add_u32_e32 v33, v41, v7                                 // 0000000032A4: 68420F29
	s_waitcnt lgkmcnt(0)                                       // 0000000032A8: BF8CC07F
	s_barrier                                                  // 0000000032AC: BF8A0000
	ds_read_b32 v64, v10 offset:4224                           // 0000000032B0: D86C1080 4000000A
	ds_read_b32 v65, v10 offset:4288                           // 0000000032B8: D86C10C0 4100000A
	ds_read_b32 v66, v10 offset:4352                           // 0000000032C0: D86C1100 4200000A
	ds_read_b32 v67, v10 offset:4416                           // 0000000032C8: D86C1140 4300000A
	ds_read_b32 v68, v10 offset:4480                           // 0000000032D0: D86C1180 4400000A
	ds_read_b32 v69, v10 offset:4544                           // 0000000032D8: D86C11C0 4500000A
	ds_read_b32 v70, v10 offset:4608                           // 0000000032E0: D86C1200 4600000A
	ds_read_b32 v71, v10 offset:4672                           // 0000000032E8: D86C1240 4700000A
	ds_read_b32 v72, v10 offset:4736                           // 0000000032F0: D86C1280 4800000A
	ds_read_b32 v73, v10 offset:4800                           // 0000000032F8: D86C12C0 4900000A
	ds_read_b32 v74, v10 offset:4864                           // 000000003300: D86C1300 4A00000A
	ds_read_b32 v75, v10 offset:4928                           // 000000003308: D86C1340 4B00000A
	ds_read_b32 v76, v10 offset:4992                           // 000000003310: D86C1380 4C00000A
	ds_read_b32 v77, v10 offset:5056                           // 000000003318: D86C13C0 4D00000A
	ds_read_b32 v78, v10 offset:5120                           // 000000003320: D86C1400 4E00000A
	ds_read_b32 v79, v10 offset:5184                           // 000000003328: D86C1440 4F00000A
	buffer_load_dwordx4 v[156:159], v25, s[16:19], 0 offen offset:1024// 000000003330: E05C1400 80049C19
	v_mul_f32_e32 v112, v49, v112                              // 000000003338: 0AE0E131
	v_mul_f32_e32 v113, v49, v113                              // 00000000333C: 0AE2E331
	v_mul_f32_e32 v114, v49, v114                              // 000000003340: 0AE4E531
	v_mul_f32_e32 v115, v49, v115                              // 000000003344: 0AE6E731
	v_or_b32_dpp v104, v108, v104 row_shr:8 row_mask:0xf bank_mask:0xf bound_ctrl:1// 000000003348: 28D0D0FA FF09186C
	v_or_b32_dpp v105, v109, v105 row_shr:8 row_mask:0xf bank_mask:0xf bound_ctrl:1// 000000003350: 28D2D2FA FF09186D
	v_or_b32_dpp v106, v110, v106 row_shr:8 row_mask:0xf bank_mask:0xf bound_ctrl:1// 000000003358: 28D4D4FA FF09186E
	v_or_b32_dpp v107, v111, v107 row_shr:8 row_mask:0xf bank_mask:0xf bound_ctrl:1// 000000003360: 28D6D6FA FF09186F
	s_waitcnt lgkmcnt(0)                                       // 000000003368: BF8CC07F
	v_max3_f32 v48, v64, v65, v48                              // 00000000336C: D1D30030 04C28340
	v_max3_f32 v48, v66, v67, v48                              // 000000003374: D1D30030 04C28742
	v_max3_f32 v48, v68, v69, v48                              // 00000000337C: D1D30030 04C28B44
	v_max3_f32 v48, v70, v71, v48                              // 000000003384: D1D30030 04C28F46
	v_max3_f32 v48, v72, v73, v48                              // 00000000338C: D1D30030 04C29348
	v_max3_f32 v48, v74, v75, v48                              // 000000003394: D1D30030 04C2974A
	v_max3_f32 v48, v76, v77, v48                              // 00000000339C: D1D30030 04C29B4C
	v_max3_f32 v48, v78, v79, v48                              // 0000000033A4: D1D30030 04C29F4E
	buffer_load_dwordx4 v[192:195], v30, s[20:23], 0 offen     // 0000000033AC: E05C1000 8005C01E
	v_cmp_eq_u32_e64 s[40:41], v52, v14                        // 0000000033B4: D0CA0028 00021D34
	s_nop 1                                                    // 0000000033BC: BF800001
	v_mov_b32_dpp v38, v48 row_ror:8 row_mask:0xf bank_mask:0xf// 0000000033C0: 7E4C02FA FF012830
	v_max_f32_e32 v48, v48, v38                                // 0000000033C8: 16604D30
	v_max_f32_e32 v15, v48, v14                                // 0000000033CC: 161E1D30
	v_mul_f32_e32 v50, s64, v15                                // 0000000033D0: 0A641E40
	v_fma_f32 v88, v88, s64, -v50                              // 0000000033D4: D1CB0058 84C88158
	v_fma_f32 v89, v89, s64, -v50                              // 0000000033DC: D1CB0059 84C88159
	v_fma_f32 v90, v90, s64, -v50                              // 0000000033E4: D1CB005A 84C8815A
	v_fma_f32 v91, v91, s64, -v50                              // 0000000033EC: D1CB005B 84C8815B
	v_fma_f32 v92, v92, s64, -v50                              // 0000000033F4: D1CB005C 84C8815C
	v_fma_f32 v93, v93, s64, -v50                              // 0000000033FC: D1CB005D 84C8815D
	v_fma_f32 v94, v94, s64, -v50                              // 000000003404: D1CB005E 84C8815E
	v_fma_f32 v95, v95, s64, -v50                              // 00000000340C: D1CB005F 84C8815F
	buffer_load_dwordx4 v[196:199], v31, s[20:23], 0 offen     // 000000003414: E05C1000 8005C41F
	v_exp_f32_e32 v88, v88                                     // 00000000341C: 7EB04158
	v_exp_f32_e32 v89, v89                                     // 000000003420: 7EB24159
	v_exp_f32_e32 v90, v90                                     // 000000003424: 7EB4415A
	v_exp_f32_e32 v91, v91                                     // 000000003428: 7EB6415B
	v_exp_f32_e32 v92, v92                                     // 00000000342C: 7EB8415C
	v_exp_f32_e32 v93, v93                                     // 000000003430: 7EBA415D
	v_exp_f32_e32 v94, v94                                     // 000000003434: 7EBC415E
	v_exp_f32_e32 v95, v95                                     // 000000003438: 7EBE415F
	buffer_load_dwordx4 v[200:203], v32, s[20:23], 0 offen     // 00000000343C: E05C1000 8005C820
	v_mul_f32_dpp v116, v126, v88 quad_perm:[0,0,0,0] row_mask:0xf bank_mask:0xf// 000000003444: 0AE8B0FA FF00007E
	v_mul_f32_dpp v117, v126, v89 quad_perm:[1,1,1,1] row_mask:0xf bank_mask:0xf// 00000000344C: 0AEAB2FA FF00557E
	v_mul_f32_dpp v118, v126, v90 quad_perm:[2,2,2,2] row_mask:0xf bank_mask:0xf// 000000003454: 0AECB4FA FF00AA7E
	v_mul_f32_dpp v119, v126, v91 quad_perm:[3,3,3,3] row_mask:0xf bank_mask:0xf// 00000000345C: 0AEEB6FA FF00FF7E
	v_mul_f32_dpp v120, v127, v92 quad_perm:[0,0,0,0] row_mask:0xf bank_mask:0xf// 000000003464: 0AF0B8FA FF00007F
	v_mul_f32_dpp v121, v127, v93 quad_perm:[1,1,1,1] row_mask:0xf bank_mask:0xf// 00000000346C: 0AF2BAFA FF00557F
	v_mul_f32_dpp v122, v127, v94 quad_perm:[2,2,2,2] row_mask:0xf bank_mask:0xf// 000000003474: 0AF4BCFA FF00AA7F
	v_mul_f32_dpp v123, v127, v95 quad_perm:[3,3,3,3] row_mask:0xf bank_mask:0xf// 00000000347C: 0AF6BEFA FF00FF7F
	v_mov_b32_e32 v48, 0x358637bd                              // 000000003484: 7E6002FF 358637BD
	v_max3_f32 v48, |v116|, |v117|, v48                        // 00000000348C: D1D30330 04C2EB74
	v_max3_f32 v48, |v118|, |v119|, v48                        // 000000003494: D1D30330 04C2EF76
	v_max3_f32 v48, |v120|, |v121|, v48                        // 00000000349C: D1D30330 04C2F378
	v_max3_f32 v48, |v122|, |v123|, v48                        // 0000000034A4: D1D30330 04C2F77A
	buffer_load_dwordx4 v[204:207], v33, s[20:23], 0 offen     // 0000000034AC: E05C1000 8005CC21
	ds_write_b32 v11, v48 offset:5248                          // 0000000034B4: D81A1480 0000300B
	v_sub_f32_e32 v49, v14, v15                                // 0000000034BC: 04621F0E
	v_cndmask_b32_e64 v49, v49, 0, s[40:41]                    // 0000000034C0: D1000031 00A10131
	v_mov_b32_e32 v14, v15                                     // 0000000034C8: 7E1C030F
	v_mul_f32_e32 v49, s64, v49                                // 0000000034CC: 0A626240
	v_exp_f32_e32 v49, v49                                     // 0000000034D0: 7E624131
	s_waitcnt lgkmcnt(0)                                       // 0000000034D4: BF8CC07F
	s_barrier                                                  // 0000000034D8: BF8A0000
	ds_read_b32 v64, v10 offset:5248                           // 0000000034DC: D86C1480 4000000A
	ds_read_b32 v65, v10 offset:5312                           // 0000000034E4: D86C14C0 4100000A
	ds_read_b32 v66, v10 offset:5376                           // 0000000034EC: D86C1500 4200000A
	ds_read_b32 v67, v10 offset:5440                           // 0000000034F4: D86C1540 4300000A
	ds_read_b32 v68, v10 offset:5504                           // 0000000034FC: D86C1580 4400000A
	ds_read_b32 v69, v10 offset:5568                           // 000000003504: D86C15C0 4500000A
	ds_read_b32 v70, v10 offset:5632                           // 00000000350C: D86C1600 4600000A
	ds_read_b32 v71, v10 offset:5696                           // 000000003514: D86C1640 4700000A
	ds_read_b32 v72, v10 offset:5760                           // 00000000351C: D86C1680 4800000A
	ds_read_b32 v73, v10 offset:5824                           // 000000003524: D86C16C0 4900000A
	ds_read_b32 v74, v10 offset:5888                           // 00000000352C: D86C1700 4A00000A
	ds_read_b32 v75, v10 offset:5952                           // 000000003534: D86C1740 4B00000A
	ds_read_b32 v76, v10 offset:6016                           // 00000000353C: D86C1780 4C00000A
	ds_read_b32 v77, v10 offset:6080                           // 000000003544: D86C17C0 4D00000A
	ds_read_b32 v78, v10 offset:6144                           // 00000000354C: D86C1800 4E00000A
	ds_read_b32 v79, v10 offset:6208                           // 000000003554: D86C1840 4F00000A
	v_mul_f32_e32 v42, v49, v42                                // 00000000355C: 0A545531
	v_mov_b32_e32 v43, v88                                     // 000000003560: 7E560358
	v_add_f32_e32 v43, v89, v43                                // 000000003564: 02565759
	v_add_f32_e32 v43, v90, v43                                // 000000003568: 0256575A
	v_add_f32_e32 v43, v91, v43                                // 00000000356C: 0256575B
	v_add_f32_e32 v43, v92, v43                                // 000000003570: 0256575C
	v_add_f32_e32 v43, v93, v43                                // 000000003574: 0256575D
	v_add_f32_e32 v43, v94, v43                                // 000000003578: 0256575E
	v_add_f32_e32 v43, v95, v43                                // 00000000357C: 0256575F
	v_add_f32_e32 v42, v43, v42                                // 000000003580: 0254552B
	s_waitcnt lgkmcnt(0)                                       // 000000003584: BF8CC07F
	v_max3_f32 v48, |v64|, |v65|, v48                          // 000000003588: D1D30330 04C28340
	v_max3_f32 v48, |v66|, |v67|, v48                          // 000000003590: D1D30330 04C28742
	v_max3_f32 v48, |v68|, |v69|, v48                          // 000000003598: D1D30330 04C28B44
	v_max3_f32 v48, |v70|, |v71|, v48                          // 0000000035A0: D1D30330 04C28F46
	v_max3_f32 v48, |v72|, |v73|, v48                          // 0000000035A8: D1D30330 04C29348
	v_max3_f32 v48, |v74|, |v75|, v48                          // 0000000035B0: D1D30330 04C2974A
	v_max3_f32 v48, |v76|, |v77|, v48                          // 0000000035B8: D1D30330 04C29B4C
	v_max3_f32 v48, |v78|, |v79|, v48                          // 0000000035C0: D1D30330 04C29F4E
	s_nop 2                                                    // 0000000035C8: BF800002
	v_mov_b32_dpp v38, v48 row_ror:8 row_mask:0xf bank_mask:0xf// 0000000035CC: 7E4C02FA FF012830
	v_max_f32_e32 v48, v48, v38                                // 0000000035D4: 16604D30
	v_rcp_f32_e32 v48, v48                                     // 0000000035D8: 7E604530
	s_nop 1                                                    // 0000000035DC: BF800001
	v_mul_f32_e32 v48, 0x43700000, v48                         // 0000000035E0: 0A6060FF 43700000
	v_mul_f32_e32 v88, v48, v116                               // 0000000035E8: 0AB0E930
	v_mul_f32_e32 v89, v48, v117                               // 0000000035EC: 0AB2EB30
	v_mul_f32_e32 v90, v48, v118                               // 0000000035F0: 0AB4ED30
	v_mul_f32_e32 v91, v48, v119                               // 0000000035F4: 0AB6EF30
	v_mul_f32_e32 v92, v48, v120                               // 0000000035F8: 0AB8F130
	v_mul_f32_e32 v93, v48, v121                               // 0000000035FC: 0ABAF330
	v_mul_f32_e32 v94, v48, v122                               // 000000003600: 0ABCF530
	v_mul_f32_e32 v95, v48, v123                               // 000000003604: 0ABEF730
	v_cvt_pk_fp8_f32 v88, v88, v89                             // 000000003608: D2A20058 0002B358
	v_cvt_pk_fp8_f32 v88, v90, v91 op_sel:[0,0,1]              // 000000003610: D2A24058 0002B75A
	v_cvt_pk_fp8_f32 v89, v92, v93                             // 000000003618: D2A20059 0002BB5C
	v_cvt_pk_fp8_f32 v89, v94, v95 op_sel:[0,0,1]              // 000000003620: D2A24059 0002BF5E
	ds_write_b32 v13, v88 offset:6272                          // 000000003628: D81A1880 0000580D
	ds_write_b32 v13, v89 offset:7296                          // 000000003630: D81A1C80 0000590D
	v_mul_f32_e32 v104, v47, v104                              // 000000003638: 0AD0D12F
	v_mul_f32_e32 v105, v47, v105                              // 00000000363C: 0AD2D32F
	v_mul_f32_e32 v106, v47, v106                              // 000000003640: 0AD4D52F
	v_mul_f32_e32 v107, v47, v107                              // 000000003644: 0AD6D72F
	v_rcp_f32_e32 v47, v48                                     // 000000003648: 7E5E4530
	s_waitcnt lgkmcnt(0)                                       // 00000000364C: BF8CC07F
	s_barrier                                                  // 000000003650: BF8A0000
	ds_read_b64 v[88:89], v12 offset:6272                      // 000000003654: D8EC1880 5800000C
	ds_read_b64 v[90:91], v12 offset:6400                      // 00000000365C: D8EC1900 5A00000C
	ds_read_b64 v[92:93], v12 offset:7296                      // 000000003664: D8EC1C80 5C00000C
	ds_read_b64 v[94:95], v12 offset:7424                      // 00000000366C: D8EC1D00 5E00000C
	v_add_f32_e32 v112, v112, v104                             // 000000003674: 02E0D170
	v_add_f32_e32 v113, v113, v105                             // 000000003678: 02E2D371
	v_add_f32_e32 v114, v114, v106                             // 00000000367C: 02E4D572
	v_add_f32_e32 v115, v115, v107                             // 000000003680: 02E6D773
	s_waitcnt lgkmcnt(3)                                       // 000000003684: BF8CC37F
	v_mov_b32_dpp v96, v88 row_shl:8 row_mask:0xf bank_mask:0xf bound_ctrl:1// 000000003688: 7EC002FA FF090858
	v_and_b32_e32 v88, v88, v9                                 // 000000003690: 26B01358
	v_mov_b32_dpp v97, v89 row_shl:8 row_mask:0xf bank_mask:0xf bound_ctrl:1// 000000003694: 7EC202FA FF090859
	v_and_b32_e32 v89, v89, v9                                 // 00000000369C: 26B21359
	s_waitcnt lgkmcnt(2)                                       // 0000000036A0: BF8CC27F
	v_mov_b32_dpp v98, v90 row_shl:8 row_mask:0xf bank_mask:0xf bound_ctrl:1// 0000000036A4: 7EC402FA FF09085A
	v_and_b32_e32 v90, v90, v9                                 // 0000000036AC: 26B4135A
	v_mov_b32_dpp v99, v91 row_shl:8 row_mask:0xf bank_mask:0xf bound_ctrl:1// 0000000036B0: 7EC602FA FF09085B
	v_and_b32_e32 v91, v91, v9                                 // 0000000036B8: 26B6135B
	s_waitcnt lgkmcnt(1)                                       // 0000000036BC: BF8CC17F
	v_mov_b32_dpp v100, v92 row_shl:8 row_mask:0xf bank_mask:0xf bound_ctrl:1// 0000000036C0: 7EC802FA FF09085C
	v_and_b32_e32 v92, v92, v9                                 // 0000000036C8: 26B8135C
	v_mov_b32_dpp v101, v93 row_shl:8 row_mask:0xf bank_mask:0xf bound_ctrl:1// 0000000036CC: 7ECA02FA FF09085D
	v_and_b32_e32 v93, v93, v9                                 // 0000000036D4: 26BA135D
	s_waitcnt lgkmcnt(0)                                       // 0000000036D8: BF8CC07F
	v_mov_b32_dpp v102, v94 row_shl:8 row_mask:0xf bank_mask:0xf bound_ctrl:1// 0000000036DC: 7ECC02FA FF09085E
	v_and_b32_e32 v94, v94, v9                                 // 0000000036E4: 26BC135E
	v_mov_b32_dpp v103, v95 row_shl:8 row_mask:0xf bank_mask:0xf bound_ctrl:1// 0000000036E8: 7ECE02FA FF09085F
	v_and_b32_e32 v95, v95, v9                                 // 0000000036F0: 26BE135F
	s_waitcnt vmcnt(15)                                        // 0000000036F4: BF8C0F7F
	v_mfma_f32_16x16x32_fp8_fp8 v[104:107], v[224:225], v[88:89], 0// 0000000036F8: D3F30068 0202B1E0
	v_mfma_f32_16x16x32_fp8_fp8 v[104:107], v[226:227], v[90:91], v[104:107]// 000000003700: D3F30068 05A2B5E2
	buffer_load_dwordx4 v[208:211], v30, s[20:23], 0 offen offset:1024// 000000003708: E05C1400 8005D01E
	v_mfma_f32_16x16x32_fp8_fp8 v[104:107], v[228:229], v[92:93], v[104:107]// 000000003710: D3F30068 05A2B9E4
	v_mfma_f32_16x16x32_fp8_fp8 v[104:107], v[230:231], v[94:95], v[104:107]// 000000003718: D3F30068 05A2BDE6
	v_mfma_f32_16x16x32_fp8_fp8 v[104:107], v[232:233], v[96:97], v[104:107]// 000000003720: D3F30068 05A2C1E8
	v_mfma_f32_16x16x32_fp8_fp8 v[104:107], v[234:235], v[98:99], v[104:107]// 000000003728: D3F30068 05A2C5EA
	buffer_load_dwordx4 v[212:215], v31, s[20:23], 0 offen offset:1024// 000000003730: E05C1400 8005D41F
	v_mfma_f32_16x16x32_fp8_fp8 v[104:107], v[236:237], v[100:101], v[104:107]// 000000003738: D3F30068 05A2C9EC
	v_mfma_f32_16x16x32_fp8_fp8 v[104:107], v[238:239], v[102:103], v[104:107]// 000000003740: D3F30068 05A2CDEE
	v_mfma_f32_16x16x32_fp8_fp8 v[108:111], v[240:241], v[88:89], 0// 000000003748: D3F3006C 0202B1F0
	v_mfma_f32_16x16x32_fp8_fp8 v[108:111], v[242:243], v[90:91], v[108:111]// 000000003750: D3F3006C 05B2B5F2
	buffer_load_dwordx4 v[216:219], v32, s[20:23], 0 offen offset:1024// 000000003758: E05C1400 8005D820
	v_mfma_f32_16x16x32_fp8_fp8 v[108:111], v[244:245], v[92:93], v[108:111]// 000000003760: D3F3006C 05B2B9F4
	v_mfma_f32_16x16x32_fp8_fp8 v[108:111], v[246:247], v[94:95], v[108:111]// 000000003768: D3F3006C 05B2BDF6
	v_mfma_f32_16x16x32_fp8_fp8 v[108:111], v[248:249], v[96:97], v[108:111]// 000000003770: D3F3006C 05B2C1F8
	v_mfma_f32_16x16x32_fp8_fp8 v[108:111], v[250:251], v[98:99], v[108:111]// 000000003778: D3F3006C 05B2C5FA
	buffer_load_dwordx4 v[220:223], v33, s[20:23], 0 offen offset:1024// 000000003780: E05C1400 8005DC21
	v_mfma_f32_16x16x32_fp8_fp8 v[108:111], v[252:253], v[100:101], v[108:111]// 000000003788: D3F3006C 05B2C9FC
	s_lshr_b32 s57, s70, 4                                     // 000000003790: 8F398446
	s_add_u32 s57, 48, s57                                     // 000000003794: 803939B0
	v_mfma_f32_16x16x32_fp8_fp8 v[108:111], v[254:255], v[102:103], v[108:111]// 000000003798: D3F3006C 05B2CDFE
	s_cmp_ge_u32 s57, s73                                      // 0000000037A0: BF094939
	s_cselect_b32 s56, 0, s56                                  // 0000000037A4: 85383880
	v_add_u32_e32 v1, s56, v1                                  // 0000000037A8: 68020238
	s_addk_i32 s70, 0x100                                      // 0000000037AC: B7460100
	s_cmp_lt_i32 s70, s71                                      // 0000000037B0: BF044746
	s_cbranch_scc0 label_05AF                                  // 0000000037B4: BF840001
	s_branch label_01FA                                        // 0000000037B8: BF82FC4B

00000000000037bc <label_05AF>:
	s_nop 0                                                    // 0000000037BC: BF800000
	s_nop 0                                                    // 0000000037C0: BF800000
	s_branch label_0967                                        // 0000000037C4: BF8203B5

00000000000037c8 <label_05B2>:
	s_waitcnt vmcnt(8) lgkmcnt(0)                              // 0000000037C8: BF8C0078
	v_mul_u32_u24_dpp v38, v17, v51 row_newbcast:0 row_mask:0xf bank_mask:0xf// 0000000037CC: 104C66FA FF015011
	v_mul_u32_u24_dpp v39, v17, v51 row_newbcast:4 row_mask:0xf bank_mask:0xf// 0000000037D4: 104E66FA FF015411
	v_mul_u32_u24_dpp v40, v17, v51 row_newbcast:8 row_mask:0xf bank_mask:0xf// 0000000037DC: 105066FA FF015811
	v_mul_u32_u24_dpp v41, v17, v51 row_newbcast:12 row_mask:0xf bank_mask:0xf// 0000000037E4: 105266FA FF015C11
	v_add_u32_e32 v26, v38, v6                                 // 0000000037EC: 68340D26
	v_add_u32_e32 v27, v39, v6                                 // 0000000037F0: 68360D27
	v_add_u32_e32 v28, v40, v6                                 // 0000000037F4: 68380D28
	v_add_u32_e32 v29, v41, v6                                 // 0000000037F8: 683A0D29
	v_mul_u32_u24_dpp v38, v17, v61 quad_perm:[0,0,0,0] row_mask:0xf bank_mask:0xf// 0000000037FC: 104C7AFA FF000011
	v_add_u32_e32 v3, v38, v57                                 // 000000003804: 68067326
	v_mul_u32_u24_dpp v38, v17, v61 quad_perm:[0,0,0,0] row_mask:0xf bank_mask:0xf// 000000003808: 104C7AFA FF000011
	v_add_u32_e32 v54, v38, v58                                // 000000003810: 686C7526
	v_mfma_f32_16x16x32_fp8_fp8 v[88:91], v[128:129], v[80:81], 0// 000000003814: D3F30058 0202A180
	buffer_load_dwordx4 v[160:163], v26, s[16:19], 0 offen     // 00000000381C: E05C1000 8004A01A
	v_mfma_f32_16x16x32_fp8_fp8 v[88:91], v[130:131], v[82:83], v[88:91]// 000000003824: D3F30058 0562A582
	v_mfma_f32_16x16x32_fp8_fp8 v[88:91], v[132:133], v[84:85], v[88:91]// 00000000382C: D3F30058 0562A984
	buffer_load_dword v16, v1, s[24:27], 0 offen               // 000000003834: E0501000 80061001
	v_mfma_f32_16x16x32_fp8_fp8 v[88:91], v[134:135], v[86:87], v[88:91]// 00000000383C: D3F30058 0562AD86
	v_mfma_f32_16x16x32_fp8_fp8 v[92:95], v[136:137], v[80:81], 0// 000000003844: D3F3005C 0202A188
	buffer_load_dwordx4 v[164:167], v26, s[16:19], 0 offen offset:1024// 00000000384C: E05C1400 8004A41A
	v_mfma_f32_16x16x32_fp8_fp8 v[92:95], v[138:139], v[82:83], v[92:95]// 000000003854: D3F3005C 0572A58A
	v_mfma_f32_16x16x32_fp8_fp8 v[92:95], v[140:141], v[84:85], v[92:95]// 00000000385C: D3F3005C 0572A98C
	v_mfma_f32_16x16x32_fp8_fp8 v[92:95], v[142:143], v[86:87], v[92:95]// 000000003864: D3F3005C 0572AD8E
	v_mfma_f32_16x16x32_fp8_fp8 v[96:99], v[144:145], v[80:81], 0// 00000000386C: D3F30060 0202A190
	buffer_load_dwordx4 v[168:171], v27, s[16:19], 0 offen     // 000000003874: E05C1000 8004A81B
	v_mfma_f32_16x16x32_fp8_fp8 v[96:99], v[146:147], v[82:83], v[96:99]// 00000000387C: D3F30060 0582A592
	v_mfma_f32_16x16x32_fp8_fp8 v[96:99], v[148:149], v[84:85], v[96:99]// 000000003884: D3F30060 0582A994
	v_mfma_f32_16x16x32_fp8_fp8 v[96:99], v[150:151], v[86:87], v[96:99]// 00000000388C: D3F30060 0582AD96
	v_mfma_f32_16x16x32_fp8_fp8 v[100:103], v[152:153], v[80:81], 0// 000000003894: D3F30064 0202A198
	buffer_load_dwordx4 v[172:175], v27, s[16:19], 0 offen offset:1024// 00000000389C: E05C1400 8004AC1B
	v_mfma_f32_16x16x32_fp8_fp8 v[100:103], v[154:155], v[82:83], v[100:103]// 0000000038A4: D3F30064 0592A59A
	v_mfma_f32_16x16x32_fp8_fp8 v[100:103], v[156:157], v[84:85], v[100:103]// 0000000038AC: D3F30064 0592A99C
	v_mfma_f32_16x16x32_fp8_fp8 v[100:103], v[158:159], v[86:87], v[100:103]// 0000000038B4: D3F30064 0592AD9E
	buffer_load_dword v45, v3, s[32:35], 0 offen               // 0000000038BC: E0501000 80082D03
	v_mov_b32_dpp v38, v44 row_shr:4 row_mask:0xf bank_mask:0xf// 0000000038C4: 7E4C02FA FF01142C
	v_mov_b32_dpp v39, v44 row_shl:4 row_mask:0xf bank_mask:0xf// 0000000038CC: 7E4E02FA FF01042C
	v_cndmask_b32_e64 v124, v44, v38, s[44:45]                 // 0000000038D4: D100007C 00B24D2C
	v_cndmask_b32_e64 v125, v39, v44, s[44:45]                 // 0000000038DC: D100007D 00B25927
	v_mov_b32_dpp v38, v55 row_shr:4 row_mask:0xf bank_mask:0xf// 0000000038E4: 7E4C02FA FF011437
	v_mov_b32_dpp v39, v55 row_shl:4 row_mask:0xf bank_mask:0xf// 0000000038EC: 7E4E02FA FF010437
	v_cndmask_b32_e64 v126, v55, v38, s[44:45]                 // 0000000038F4: D100007E 00B24D37
	v_cndmask_b32_e64 v127, v39, v55, s[44:45]                 // 0000000038FC: D100007F 00B26F27
	v_or_b32_dpp v88, v96, v88 row_shr:8 row_mask:0xf bank_mask:0xf bound_ctrl:1// 000000003904: 28B0B0FA FF091860
	v_or_b32_dpp v89, v97, v89 row_shr:8 row_mask:0xf bank_mask:0xf bound_ctrl:1// 00000000390C: 28B2B2FA FF091861
	v_or_b32_dpp v90, v98, v90 row_shr:8 row_mask:0xf bank_mask:0xf bound_ctrl:1// 000000003914: 28B4B4FA FF091862
	v_or_b32_dpp v91, v99, v91 row_shr:8 row_mask:0xf bank_mask:0xf bound_ctrl:1// 00000000391C: 28B6B6FA FF091863
	v_or_b32_dpp v92, v100, v92 row_shr:8 row_mask:0xf bank_mask:0xf bound_ctrl:1// 000000003924: 28B8B8FA FF091864
	v_or_b32_dpp v93, v101, v93 row_shr:8 row_mask:0xf bank_mask:0xf bound_ctrl:1// 00000000392C: 28BABAFA FF091865
	v_or_b32_dpp v94, v102, v94 row_shr:8 row_mask:0xf bank_mask:0xf bound_ctrl:1// 000000003934: 28BCBCFA FF091866
	v_or_b32_dpp v95, v103, v95 row_shr:8 row_mask:0xf bank_mask:0xf bound_ctrl:1// 00000000393C: 28BEBEFA FF091867
	buffer_load_dword v56, v54, s[36:39], 0 offen              // 000000003944: E0501000 80093836
	v_mul_f32_e32 v88, v46, v88                                // 00000000394C: 0AB0B12E
	v_mul_f32_e32 v89, v46, v89                                // 000000003950: 0AB2B32E
	v_mul_f32_e32 v90, v46, v90                                // 000000003954: 0AB4B52E
	v_mul_f32_e32 v91, v46, v91                                // 000000003958: 0AB6B72E
	v_mul_f32_e32 v92, v46, v92                                // 00000000395C: 0AB8B92E
	v_mul_f32_e32 v93, v46, v93                                // 000000003960: 0ABABB2E
	v_mul_f32_e32 v94, v46, v94                                // 000000003964: 0ABCBD2E
	v_mul_f32_e32 v95, v46, v95                                // 000000003968: 0ABEBF2E
	buffer_load_dwordx4 v[176:179], v28, s[16:19], 0 offen     // 00000000396C: E05C1000 8004B01C
	v_mul_f32_dpp v88, v124, v88 quad_perm:[0,0,0,0] row_mask:0xf bank_mask:0xf// 000000003974: 0AB0B0FA FF00007C
	v_mul_f32_dpp v89, v124, v89 quad_perm:[1,1,1,1] row_mask:0xf bank_mask:0xf// 00000000397C: 0AB2B2FA FF00557C
	v_mul_f32_dpp v90, v124, v90 quad_perm:[2,2,2,2] row_mask:0xf bank_mask:0xf// 000000003984: 0AB4B4FA FF00AA7C
	v_mul_f32_dpp v91, v124, v91 quad_perm:[3,3,3,3] row_mask:0xf bank_mask:0xf// 00000000398C: 0AB6B6FA FF00FF7C
	v_mul_f32_dpp v92, v125, v92 quad_perm:[0,0,0,0] row_mask:0xf bank_mask:0xf// 000000003994: 0AB8B8FA FF00007D
	v_mul_f32_dpp v93, v125, v93 quad_perm:[1,1,1,1] row_mask:0xf bank_mask:0xf// 00000000399C: 0ABABAFA FF00557D
	v_mul_f32_dpp v94, v125, v94 quad_perm:[2,2,2,2] row_mask:0xf bank_mask:0xf// 0000000039A4: 0ABCBCFA FF00AA7D
	v_mul_f32_dpp v95, v125, v95 quad_perm:[3,3,3,3] row_mask:0xf bank_mask:0xf// 0000000039AC: 0ABEBEFA FF00FF7D
	buffer_load_dwordx4 v[180:183], v28, s[16:19], 0 offen offset:1024// 0000000039B4: E05C1400 8004B41C
	v_mov_b32_e32 v48, v88                                     // 0000000039BC: 7E600358
	v_max3_f32 v48, v88, v89, v48                              // 0000000039C0: D1D30030 04C2B358
	v_max3_f32 v48, v90, v91, v48                              // 0000000039C8: D1D30030 04C2B75A
	v_max3_f32 v48, v92, v93, v48                              // 0000000039D0: D1D30030 04C2BB5C
	v_max3_f32 v48, v94, v95, v48                              // 0000000039D8: D1D30030 04C2BF5E
	ds_write_b32 v11, v48 offset:4224                          // 0000000039E0: D81A1080 0000300B
	buffer_load_dwordx4 v[184:187], v29, s[16:19], 0 offen     // 0000000039E8: E05C1000 8004B81D
	v_mul_u32_u24_dpp v38, v17, v51 row_newbcast:1 row_mask:0xf bank_mask:0xf// 0000000039F0: 104C66FA FF015111
	v_mul_u32_u24_dpp v39, v17, v51 row_newbcast:5 row_mask:0xf bank_mask:0xf// 0000000039F8: 104E66FA FF015511
	v_mul_u32_u24_dpp v40, v17, v51 row_newbcast:9 row_mask:0xf bank_mask:0xf// 000000003A00: 105066FA FF015911
	v_mul_u32_u24_dpp v41, v17, v51 row_newbcast:13 row_mask:0xf bank_mask:0xf// 000000003A08: 105266FA FF015D11
	v_add_u32_e32 v34, v38, v7                                 // 000000003A10: 68440F26
	v_add_u32_e32 v35, v39, v7                                 // 000000003A14: 68460F27
	v_add_u32_e32 v36, v40, v7                                 // 000000003A18: 68480F28
	v_add_u32_e32 v37, v41, v7                                 // 000000003A1C: 684A0F29
	s_waitcnt lgkmcnt(0)                                       // 000000003A20: BF8CC07F
	s_barrier                                                  // 000000003A24: BF8A0000
	ds_read_b32 v64, v10 offset:4224                           // 000000003A28: D86C1080 4000000A
	ds_read_b32 v65, v10 offset:4288                           // 000000003A30: D86C10C0 4100000A
	ds_read_b32 v66, v10 offset:4352                           // 000000003A38: D86C1100 4200000A
	ds_read_b32 v67, v10 offset:4416                           // 000000003A40: D86C1140 4300000A
	ds_read_b32 v68, v10 offset:4480                           // 000000003A48: D86C1180 4400000A
	ds_read_b32 v69, v10 offset:4544                           // 000000003A50: D86C11C0 4500000A
	ds_read_b32 v70, v10 offset:4608                           // 000000003A58: D86C1200 4600000A
	ds_read_b32 v71, v10 offset:4672                           // 000000003A60: D86C1240 4700000A
	ds_read_b32 v72, v10 offset:4736                           // 000000003A68: D86C1280 4800000A
	ds_read_b32 v73, v10 offset:4800                           // 000000003A70: D86C12C0 4900000A
	ds_read_b32 v74, v10 offset:4864                           // 000000003A78: D86C1300 4A00000A
	ds_read_b32 v75, v10 offset:4928                           // 000000003A80: D86C1340 4B00000A
	ds_read_b32 v76, v10 offset:4992                           // 000000003A88: D86C1380 4C00000A
	ds_read_b32 v77, v10 offset:5056                           // 000000003A90: D86C13C0 4D00000A
	ds_read_b32 v78, v10 offset:5120                           // 000000003A98: D86C1400 4E00000A
	ds_read_b32 v79, v10 offset:5184                           // 000000003AA0: D86C1440 4F00000A
	buffer_load_dwordx4 v[188:191], v29, s[16:19], 0 offen offset:1024// 000000003AA8: E05C1400 8004BC1D
	v_mul_f32_e32 v112, v49, v112                              // 000000003AB0: 0AE0E131
	v_mul_f32_e32 v113, v49, v113                              // 000000003AB4: 0AE2E331
	v_mul_f32_e32 v114, v49, v114                              // 000000003AB8: 0AE4E531
	v_mul_f32_e32 v115, v49, v115                              // 000000003ABC: 0AE6E731
	v_or_b32_dpp v104, v108, v104 row_shr:8 row_mask:0xf bank_mask:0xf bound_ctrl:1// 000000003AC0: 28D0D0FA FF09186C
	v_or_b32_dpp v105, v109, v105 row_shr:8 row_mask:0xf bank_mask:0xf bound_ctrl:1// 000000003AC8: 28D2D2FA FF09186D
	v_or_b32_dpp v106, v110, v106 row_shr:8 row_mask:0xf bank_mask:0xf bound_ctrl:1// 000000003AD0: 28D4D4FA FF09186E
	v_or_b32_dpp v107, v111, v107 row_shr:8 row_mask:0xf bank_mask:0xf bound_ctrl:1// 000000003AD8: 28D6D6FA FF09186F
	s_waitcnt lgkmcnt(0)                                       // 000000003AE0: BF8CC07F
	v_max3_f32 v48, v64, v65, v48                              // 000000003AE4: D1D30030 04C28340
	v_max3_f32 v48, v66, v67, v48                              // 000000003AEC: D1D30030 04C28742
	v_max3_f32 v48, v68, v69, v48                              // 000000003AF4: D1D30030 04C28B44
	v_max3_f32 v48, v70, v71, v48                              // 000000003AFC: D1D30030 04C28F46
	v_max3_f32 v48, v72, v73, v48                              // 000000003B04: D1D30030 04C29348
	v_max3_f32 v48, v74, v75, v48                              // 000000003B0C: D1D30030 04C2974A
	v_max3_f32 v48, v76, v77, v48                              // 000000003B14: D1D30030 04C29B4C
	v_max3_f32 v48, v78, v79, v48                              // 000000003B1C: D1D30030 04C29F4E
	buffer_load_dwordx4 v[224:227], v34, s[20:23], 0 offen     // 000000003B24: E05C1000 8005E022
	v_cmp_eq_u32_e64 s[40:41], v52, v14                        // 000000003B2C: D0CA0028 00021D34
	s_nop 1                                                    // 000000003B34: BF800001
	v_mov_b32_dpp v38, v48 row_ror:8 row_mask:0xf bank_mask:0xf// 000000003B38: 7E4C02FA FF012830
	v_max_f32_e32 v48, v48, v38                                // 000000003B40: 16604D30
	v_max_f32_e32 v15, v48, v14                                // 000000003B44: 161E1D30
	v_mul_f32_e32 v50, s64, v15                                // 000000003B48: 0A641E40
	v_fma_f32 v88, v88, s64, -v50                              // 000000003B4C: D1CB0058 84C88158
	v_fma_f32 v89, v89, s64, -v50                              // 000000003B54: D1CB0059 84C88159
	v_fma_f32 v90, v90, s64, -v50                              // 000000003B5C: D1CB005A 84C8815A
	v_fma_f32 v91, v91, s64, -v50                              // 000000003B64: D1CB005B 84C8815B
	v_fma_f32 v92, v92, s64, -v50                              // 000000003B6C: D1CB005C 84C8815C
	v_fma_f32 v93, v93, s64, -v50                              // 000000003B74: D1CB005D 84C8815D
	v_fma_f32 v94, v94, s64, -v50                              // 000000003B7C: D1CB005E 84C8815E
	v_fma_f32 v95, v95, s64, -v50                              // 000000003B84: D1CB005F 84C8815F
	buffer_load_dwordx4 v[228:231], v35, s[20:23], 0 offen     // 000000003B8C: E05C1000 8005E423
	v_exp_f32_e32 v88, v88                                     // 000000003B94: 7EB04158
	v_exp_f32_e32 v89, v89                                     // 000000003B98: 7EB24159
	v_exp_f32_e32 v90, v90                                     // 000000003B9C: 7EB4415A
	v_exp_f32_e32 v91, v91                                     // 000000003BA0: 7EB6415B
	v_exp_f32_e32 v92, v92                                     // 000000003BA4: 7EB8415C
	v_exp_f32_e32 v93, v93                                     // 000000003BA8: 7EBA415D
	v_exp_f32_e32 v94, v94                                     // 000000003BAC: 7EBC415E
	v_exp_f32_e32 v95, v95                                     // 000000003BB0: 7EBE415F
	buffer_load_dwordx4 v[232:235], v36, s[20:23], 0 offen     // 000000003BB4: E05C1000 8005E824
	v_mul_f32_dpp v116, v126, v88 quad_perm:[0,0,0,0] row_mask:0xf bank_mask:0xf// 000000003BBC: 0AE8B0FA FF00007E
	v_mul_f32_dpp v117, v126, v89 quad_perm:[1,1,1,1] row_mask:0xf bank_mask:0xf// 000000003BC4: 0AEAB2FA FF00557E
	v_mul_f32_dpp v118, v126, v90 quad_perm:[2,2,2,2] row_mask:0xf bank_mask:0xf// 000000003BCC: 0AECB4FA FF00AA7E
	v_mul_f32_dpp v119, v126, v91 quad_perm:[3,3,3,3] row_mask:0xf bank_mask:0xf// 000000003BD4: 0AEEB6FA FF00FF7E
	v_mul_f32_dpp v120, v127, v92 quad_perm:[0,0,0,0] row_mask:0xf bank_mask:0xf// 000000003BDC: 0AF0B8FA FF00007F
	v_mul_f32_dpp v121, v127, v93 quad_perm:[1,1,1,1] row_mask:0xf bank_mask:0xf// 000000003BE4: 0AF2BAFA FF00557F
	v_mul_f32_dpp v122, v127, v94 quad_perm:[2,2,2,2] row_mask:0xf bank_mask:0xf// 000000003BEC: 0AF4BCFA FF00AA7F
	v_mul_f32_dpp v123, v127, v95 quad_perm:[3,3,3,3] row_mask:0xf bank_mask:0xf// 000000003BF4: 0AF6BEFA FF00FF7F
	v_mov_b32_e32 v48, 0x358637bd                              // 000000003BFC: 7E6002FF 358637BD
	v_max3_f32 v48, |v116|, |v117|, v48                        // 000000003C04: D1D30330 04C2EB74
	v_max3_f32 v48, |v118|, |v119|, v48                        // 000000003C0C: D1D30330 04C2EF76
	v_max3_f32 v48, |v120|, |v121|, v48                        // 000000003C14: D1D30330 04C2F378
	v_max3_f32 v48, |v122|, |v123|, v48                        // 000000003C1C: D1D30330 04C2F77A
	buffer_load_dwordx4 v[236:239], v37, s[20:23], 0 offen     // 000000003C24: E05C1000 8005EC25
	ds_write_b32 v11, v48 offset:5248                          // 000000003C2C: D81A1480 0000300B
	v_sub_f32_e32 v49, v14, v15                                // 000000003C34: 04621F0E
	v_cndmask_b32_e64 v49, v49, 0, s[40:41]                    // 000000003C38: D1000031 00A10131
	v_mov_b32_e32 v14, v15                                     // 000000003C40: 7E1C030F
	v_mul_f32_e32 v49, s64, v49                                // 000000003C44: 0A626240
	v_exp_f32_e32 v49, v49                                     // 000000003C48: 7E624131
	s_waitcnt lgkmcnt(0)                                       // 000000003C4C: BF8CC07F
	s_barrier                                                  // 000000003C50: BF8A0000
	ds_read_b32 v64, v10 offset:5248                           // 000000003C54: D86C1480 4000000A
	ds_read_b32 v65, v10 offset:5312                           // 000000003C5C: D86C14C0 4100000A
	ds_read_b32 v66, v10 offset:5376                           // 000000003C64: D86C1500 4200000A
	ds_read_b32 v67, v10 offset:5440                           // 000000003C6C: D86C1540 4300000A
	ds_read_b32 v68, v10 offset:5504                           // 000000003C74: D86C1580 4400000A
	ds_read_b32 v69, v10 offset:5568                           // 000000003C7C: D86C15C0 4500000A
	ds_read_b32 v70, v10 offset:5632                           // 000000003C84: D86C1600 4600000A
	ds_read_b32 v71, v10 offset:5696                           // 000000003C8C: D86C1640 4700000A
	ds_read_b32 v72, v10 offset:5760                           // 000000003C94: D86C1680 4800000A
	ds_read_b32 v73, v10 offset:5824                           // 000000003C9C: D86C16C0 4900000A
	ds_read_b32 v74, v10 offset:5888                           // 000000003CA4: D86C1700 4A00000A
	ds_read_b32 v75, v10 offset:5952                           // 000000003CAC: D86C1740 4B00000A
	ds_read_b32 v76, v10 offset:6016                           // 000000003CB4: D86C1780 4C00000A
	ds_read_b32 v77, v10 offset:6080                           // 000000003CBC: D86C17C0 4D00000A
	ds_read_b32 v78, v10 offset:6144                           // 000000003CC4: D86C1800 4E00000A
	ds_read_b32 v79, v10 offset:6208                           // 000000003CCC: D86C1840 4F00000A
	v_mul_f32_e32 v42, v49, v42                                // 000000003CD4: 0A545531
	v_mov_b32_e32 v43, v88                                     // 000000003CD8: 7E560358
	v_add_f32_e32 v43, v89, v43                                // 000000003CDC: 02565759
	v_add_f32_e32 v43, v90, v43                                // 000000003CE0: 0256575A
	v_add_f32_e32 v43, v91, v43                                // 000000003CE4: 0256575B
	v_add_f32_e32 v43, v92, v43                                // 000000003CE8: 0256575C
	v_add_f32_e32 v43, v93, v43                                // 000000003CEC: 0256575D
	v_add_f32_e32 v43, v94, v43                                // 000000003CF0: 0256575E
	v_add_f32_e32 v43, v95, v43                                // 000000003CF4: 0256575F
	v_add_f32_e32 v42, v43, v42                                // 000000003CF8: 0254552B
	s_waitcnt lgkmcnt(0)                                       // 000000003CFC: BF8CC07F
	v_max3_f32 v48, |v64|, |v65|, v48                          // 000000003D00: D1D30330 04C28340
	v_max3_f32 v48, |v66|, |v67|, v48                          // 000000003D08: D1D30330 04C28742
	v_max3_f32 v48, |v68|, |v69|, v48                          // 000000003D10: D1D30330 04C28B44
	v_max3_f32 v48, |v70|, |v71|, v48                          // 000000003D18: D1D30330 04C28F46
	v_max3_f32 v48, |v72|, |v73|, v48                          // 000000003D20: D1D30330 04C29348
	v_max3_f32 v48, |v74|, |v75|, v48                          // 000000003D28: D1D30330 04C2974A
	v_max3_f32 v48, |v76|, |v77|, v48                          // 000000003D30: D1D30330 04C29B4C
	v_max3_f32 v48, |v78|, |v79|, v48                          // 000000003D38: D1D30330 04C29F4E
	s_nop 2                                                    // 000000003D40: BF800002
	v_mov_b32_dpp v38, v48 row_ror:8 row_mask:0xf bank_mask:0xf// 000000003D44: 7E4C02FA FF012830
	v_max_f32_e32 v48, v48, v38                                // 000000003D4C: 16604D30
	v_rcp_f32_e32 v48, v48                                     // 000000003D50: 7E604530
	s_nop 1                                                    // 000000003D54: BF800001
	v_mul_f32_e32 v48, 0x43700000, v48                         // 000000003D58: 0A6060FF 43700000
	v_mul_f32_e32 v88, v48, v116                               // 000000003D60: 0AB0E930
	v_mul_f32_e32 v89, v48, v117                               // 000000003D64: 0AB2EB30
	v_mul_f32_e32 v90, v48, v118                               // 000000003D68: 0AB4ED30
	v_mul_f32_e32 v91, v48, v119                               // 000000003D6C: 0AB6EF30
	v_mul_f32_e32 v92, v48, v120                               // 000000003D70: 0AB8F130
	v_mul_f32_e32 v93, v48, v121                               // 000000003D74: 0ABAF330
	v_mul_f32_e32 v94, v48, v122                               // 000000003D78: 0ABCF530
	v_mul_f32_e32 v95, v48, v123                               // 000000003D7C: 0ABEF730
	v_cvt_pk_fp8_f32 v88, v88, v89                             // 000000003D80: D2A20058 0002B358
	v_cvt_pk_fp8_f32 v88, v90, v91 op_sel:[0,0,1]              // 000000003D88: D2A24058 0002B75A
	v_cvt_pk_fp8_f32 v89, v92, v93                             // 000000003D90: D2A20059 0002BB5C
	v_cvt_pk_fp8_f32 v89, v94, v95 op_sel:[0,0,1]              // 000000003D98: D2A24059 0002BF5E
	ds_write_b32 v13, v88 offset:6272                          // 000000003DA0: D81A1880 0000580D
	ds_write_b32 v13, v89 offset:7296                          // 000000003DA8: D81A1C80 0000590D
	v_mul_f32_e32 v104, v47, v104                              // 000000003DB0: 0AD0D12F
	v_mul_f32_e32 v105, v47, v105                              // 000000003DB4: 0AD2D32F
	v_mul_f32_e32 v106, v47, v106                              // 000000003DB8: 0AD4D52F
	v_mul_f32_e32 v107, v47, v107                              // 000000003DBC: 0AD6D72F
	v_rcp_f32_e32 v47, v48                                     // 000000003DC0: 7E5E4530
	s_waitcnt lgkmcnt(0)                                       // 000000003DC4: BF8CC07F
	s_barrier                                                  // 000000003DC8: BF8A0000
	ds_read_b64 v[88:89], v12 offset:6272                      // 000000003DCC: D8EC1880 5800000C
	ds_read_b64 v[90:91], v12 offset:6400                      // 000000003DD4: D8EC1900 5A00000C
	ds_read_b64 v[92:93], v12 offset:7296                      // 000000003DDC: D8EC1C80 5C00000C
	ds_read_b64 v[94:95], v12 offset:7424                      // 000000003DE4: D8EC1D00 5E00000C
	v_add_f32_e32 v112, v112, v104                             // 000000003DEC: 02E0D170
	v_add_f32_e32 v113, v113, v105                             // 000000003DF0: 02E2D371
	v_add_f32_e32 v114, v114, v106                             // 000000003DF4: 02E4D572
	v_add_f32_e32 v115, v115, v107                             // 000000003DF8: 02E6D773
	s_waitcnt lgkmcnt(3)                                       // 000000003DFC: BF8CC37F
	v_mov_b32_dpp v96, v88 row_shl:8 row_mask:0xf bank_mask:0xf bound_ctrl:1// 000000003E00: 7EC002FA FF090858
	v_and_b32_e32 v88, v88, v9                                 // 000000003E08: 26B01358
	v_mov_b32_dpp v97, v89 row_shl:8 row_mask:0xf bank_mask:0xf bound_ctrl:1// 000000003E0C: 7EC202FA FF090859
	v_and_b32_e32 v89, v89, v9                                 // 000000003E14: 26B21359
	s_waitcnt lgkmcnt(2)                                       // 000000003E18: BF8CC27F
	v_mov_b32_dpp v98, v90 row_shl:8 row_mask:0xf bank_mask:0xf bound_ctrl:1// 000000003E1C: 7EC402FA FF09085A
	v_and_b32_e32 v90, v90, v9                                 // 000000003E24: 26B4135A
	v_mov_b32_dpp v99, v91 row_shl:8 row_mask:0xf bank_mask:0xf bound_ctrl:1// 000000003E28: 7EC602FA FF09085B
	v_and_b32_e32 v91, v91, v9                                 // 000000003E30: 26B6135B
	s_waitcnt lgkmcnt(1)                                       // 000000003E34: BF8CC17F
	v_mov_b32_dpp v100, v92 row_shl:8 row_mask:0xf bank_mask:0xf bound_ctrl:1// 000000003E38: 7EC802FA FF09085C
	v_and_b32_e32 v92, v92, v9                                 // 000000003E40: 26B8135C
	v_mov_b32_dpp v101, v93 row_shl:8 row_mask:0xf bank_mask:0xf bound_ctrl:1// 000000003E44: 7ECA02FA FF09085D
	v_and_b32_e32 v93, v93, v9                                 // 000000003E4C: 26BA135D
	s_waitcnt lgkmcnt(0)                                       // 000000003E50: BF8CC07F
	v_mov_b32_dpp v102, v94 row_shl:8 row_mask:0xf bank_mask:0xf bound_ctrl:1// 000000003E54: 7ECC02FA FF09085E
	v_and_b32_e32 v94, v94, v9                                 // 000000003E5C: 26BC135E
	v_mov_b32_dpp v103, v95 row_shl:8 row_mask:0xf bank_mask:0xf bound_ctrl:1// 000000003E60: 7ECE02FA FF09085F
	v_and_b32_e32 v95, v95, v9                                 // 000000003E68: 26BE135F
	s_waitcnt vmcnt(15)                                        // 000000003E6C: BF8C0F7F
	v_mfma_f32_16x16x32_fp8_fp8 v[104:107], v[192:193], v[88:89], 0// 000000003E70: D3F30068 0202B1C0
	buffer_load_dwordx4 v[240:243], v34, s[20:23], 0 offen offset:1024// 000000003E78: E05C1400 8005F022
	v_mfma_f32_16x16x32_fp8_fp8 v[104:107], v[194:195], v[90:91], v[104:107]// 000000003E80: D3F30068 05A2B5C2
	v_mfma_f32_16x16x32_fp8_fp8 v[104:107], v[196:197], v[92:93], v[104:107]// 000000003E88: D3F30068 05A2B9C4
	v_mfma_f32_16x16x32_fp8_fp8 v[104:107], v[198:199], v[94:95], v[104:107]// 000000003E90: D3F30068 05A2BDC6
	v_mfma_f32_16x16x32_fp8_fp8 v[104:107], v[200:201], v[96:97], v[104:107]// 000000003E98: D3F30068 05A2C1C8
	buffer_load_dwordx4 v[244:247], v35, s[20:23], 0 offen offset:1024// 000000003EA0: E05C1400 8005F423
	v_mfma_f32_16x16x32_fp8_fp8 v[104:107], v[202:203], v[98:99], v[104:107]// 000000003EA8: D3F30068 05A2C5CA
	v_mfma_f32_16x16x32_fp8_fp8 v[104:107], v[204:205], v[100:101], v[104:107]// 000000003EB0: D3F30068 05A2C9CC
	v_mfma_f32_16x16x32_fp8_fp8 v[104:107], v[206:207], v[102:103], v[104:107]// 000000003EB8: D3F30068 05A2CDCE
	v_mfma_f32_16x16x32_fp8_fp8 v[108:111], v[208:209], v[88:89], 0// 000000003EC0: D3F3006C 0202B1D0
	buffer_load_dwordx4 v[248:251], v36, s[20:23], 0 offen offset:1024// 000000003EC8: E05C1400 8005F824
	v_mfma_f32_16x16x32_fp8_fp8 v[108:111], v[210:211], v[90:91], v[108:111]// 000000003ED0: D3F3006C 05B2B5D2
	v_mfma_f32_16x16x32_fp8_fp8 v[108:111], v[212:213], v[92:93], v[108:111]// 000000003ED8: D3F3006C 05B2B9D4
	v_mfma_f32_16x16x32_fp8_fp8 v[108:111], v[214:215], v[94:95], v[108:111]// 000000003EE0: D3F3006C 05B2BDD6
	v_mfma_f32_16x16x32_fp8_fp8 v[108:111], v[216:217], v[96:97], v[108:111]// 000000003EE8: D3F3006C 05B2C1D8
	buffer_load_dwordx4 v[252:255], v37, s[20:23], 0 offen offset:1024// 000000003EF0: E05C1400 8005FC25
	v_mfma_f32_16x16x32_fp8_fp8 v[108:111], v[218:219], v[98:99], v[108:111]// 000000003EF8: D3F3006C 05B2C5DA
	v_mfma_f32_16x16x32_fp8_fp8 v[108:111], v[220:221], v[100:101], v[108:111]// 000000003F00: D3F3006C 05B2C9DC
	s_lshr_b32 s57, s70, 4                                     // 000000003F08: 8F398446
	s_add_u32 s57, 48, s57                                     // 000000003F0C: 803939B0
	v_mfma_f32_16x16x32_fp8_fp8 v[108:111], v[222:223], v[102:103], v[108:111]// 000000003F10: D3F3006C 05B2CDDE
	s_cmp_ge_u32 s57, s73                                      // 000000003F18: BF094939
	s_cselect_b32 s56, 0, s56                                  // 000000003F1C: 85383880
	v_add_u32_e32 v1, s56, v1                                  // 000000003F20: 68020238
	s_addk_i32 s70, 0x100                                      // 000000003F24: B7460100
	s_cmp_lt_i32 s70, s71                                      // 000000003F28: BF044746
	s_cbranch_scc0 label_05AF                                  // 000000003F2C: BF84FE23
	s_waitcnt vmcnt(8) lgkmcnt(0)                              // 000000003F30: BF8C0078
	v_mul_u32_u24_dpp v38, v16, v51 row_newbcast:0 row_mask:0xf bank_mask:0xf// 000000003F34: 104C66FA FF015010
	v_mul_u32_u24_dpp v39, v16, v51 row_newbcast:4 row_mask:0xf bank_mask:0xf// 000000003F3C: 104E66FA FF015410
	v_mul_u32_u24_dpp v40, v16, v51 row_newbcast:8 row_mask:0xf bank_mask:0xf// 000000003F44: 105066FA FF015810
	v_mul_u32_u24_dpp v41, v16, v51 row_newbcast:12 row_mask:0xf bank_mask:0xf// 000000003F4C: 105266FA FF015C10
	v_add_u32_e32 v22, v38, v6                                 // 000000003F54: 682C0D26
	v_add_u32_e32 v23, v39, v6                                 // 000000003F58: 682E0D27
	v_add_u32_e32 v24, v40, v6                                 // 000000003F5C: 68300D28
	v_add_u32_e32 v25, v41, v6                                 // 000000003F60: 68320D29
	v_mul_u32_u24_dpp v38, v16, v61 quad_perm:[0,0,0,0] row_mask:0xf bank_mask:0xf// 000000003F64: 104C7AFA FF000010
	v_add_u32_e32 v2, v38, v57                                 // 000000003F6C: 68047326
	v_mul_u32_u24_dpp v38, v16, v61 quad_perm:[0,0,0,0] row_mask:0xf bank_mask:0xf// 000000003F70: 104C7AFA FF000010
	v_add_u32_e32 v53, v38, v58                                // 000000003F78: 686A7526
	v_mfma_f32_16x16x32_fp8_fp8 v[88:91], v[160:161], v[80:81], 0// 000000003F7C: D3F30058 0202A1A0
	buffer_load_dwordx4 v[128:131], v22, s[16:19], 0 offen     // 000000003F84: E05C1000 80048016
	v_mfma_f32_16x16x32_fp8_fp8 v[88:91], v[162:163], v[82:83], v[88:91]// 000000003F8C: D3F30058 0562A5A2
	v_mfma_f32_16x16x32_fp8_fp8 v[88:91], v[164:165], v[84:85], v[88:91]// 000000003F94: D3F30058 0562A9A4
	buffer_load_dword v17, v1, s[24:27], 0 offen               // 000000003F9C: E0501000 80061101
	v_mfma_f32_16x16x32_fp8_fp8 v[88:91], v[166:167], v[86:87], v[88:91]// 000000003FA4: D3F30058 0562ADA6
	v_mfma_f32_16x16x32_fp8_fp8 v[92:95], v[168:169], v[80:81], 0// 000000003FAC: D3F3005C 0202A1A8
	buffer_load_dwordx4 v[132:135], v22, s[16:19], 0 offen offset:1024// 000000003FB4: E05C1400 80048416
	v_mfma_f32_16x16x32_fp8_fp8 v[92:95], v[170:171], v[82:83], v[92:95]// 000000003FBC: D3F3005C 0572A5AA
	v_mfma_f32_16x16x32_fp8_fp8 v[92:95], v[172:173], v[84:85], v[92:95]// 000000003FC4: D3F3005C 0572A9AC
	v_mfma_f32_16x16x32_fp8_fp8 v[92:95], v[174:175], v[86:87], v[92:95]// 000000003FCC: D3F3005C 0572ADAE
	v_mfma_f32_16x16x32_fp8_fp8 v[96:99], v[176:177], v[80:81], 0// 000000003FD4: D3F30060 0202A1B0
	buffer_load_dwordx4 v[136:139], v23, s[16:19], 0 offen     // 000000003FDC: E05C1000 80048817
	v_mfma_f32_16x16x32_fp8_fp8 v[96:99], v[178:179], v[82:83], v[96:99]// 000000003FE4: D3F30060 0582A5B2
	v_mfma_f32_16x16x32_fp8_fp8 v[96:99], v[180:181], v[84:85], v[96:99]// 000000003FEC: D3F30060 0582A9B4
	v_mfma_f32_16x16x32_fp8_fp8 v[96:99], v[182:183], v[86:87], v[96:99]// 000000003FF4: D3F30060 0582ADB6
	v_mfma_f32_16x16x32_fp8_fp8 v[100:103], v[184:185], v[80:81], 0// 000000003FFC: D3F30064 0202A1B8
	buffer_load_dwordx4 v[140:143], v23, s[16:19], 0 offen offset:1024// 000000004004: E05C1400 80048C17
	v_mfma_f32_16x16x32_fp8_fp8 v[100:103], v[186:187], v[82:83], v[100:103]// 00000000400C: D3F30064 0592A5BA
	v_mfma_f32_16x16x32_fp8_fp8 v[100:103], v[188:189], v[84:85], v[100:103]// 000000004014: D3F30064 0592A9BC
	v_mfma_f32_16x16x32_fp8_fp8 v[100:103], v[190:191], v[86:87], v[100:103]// 00000000401C: D3F30064 0592ADBE
	buffer_load_dword v44, v2, s[32:35], 0 offen               // 000000004024: E0501000 80082C02
	v_mov_b32_dpp v38, v45 row_shr:4 row_mask:0xf bank_mask:0xf// 00000000402C: 7E4C02FA FF01142D
	v_mov_b32_dpp v39, v45 row_shl:4 row_mask:0xf bank_mask:0xf// 000000004034: 7E4E02FA FF01042D
	v_cndmask_b32_e64 v124, v45, v38, s[44:45]                 // 00000000403C: D100007C 00B24D2D
	v_cndmask_b32_e64 v125, v39, v45, s[44:45]                 // 000000004044: D100007D 00B25B27
	v_mov_b32_dpp v38, v56 row_shr:4 row_mask:0xf bank_mask:0xf// 00000000404C: 7E4C02FA FF011438
	v_mov_b32_dpp v39, v56 row_shl:4 row_mask:0xf bank_mask:0xf// 000000004054: 7E4E02FA FF010438
	v_cndmask_b32_e64 v126, v56, v38, s[44:45]                 // 00000000405C: D100007E 00B24D38
	v_cndmask_b32_e64 v127, v39, v56, s[44:45]                 // 000000004064: D100007F 00B27127
	v_or_b32_dpp v88, v96, v88 row_shr:8 row_mask:0xf bank_mask:0xf bound_ctrl:1// 00000000406C: 28B0B0FA FF091860
	v_or_b32_dpp v89, v97, v89 row_shr:8 row_mask:0xf bank_mask:0xf bound_ctrl:1// 000000004074: 28B2B2FA FF091861
	v_or_b32_dpp v90, v98, v90 row_shr:8 row_mask:0xf bank_mask:0xf bound_ctrl:1// 00000000407C: 28B4B4FA FF091862
	v_or_b32_dpp v91, v99, v91 row_shr:8 row_mask:0xf bank_mask:0xf bound_ctrl:1// 000000004084: 28B6B6FA FF091863
	v_or_b32_dpp v92, v100, v92 row_shr:8 row_mask:0xf bank_mask:0xf bound_ctrl:1// 00000000408C: 28B8B8FA FF091864
	v_or_b32_dpp v93, v101, v93 row_shr:8 row_mask:0xf bank_mask:0xf bound_ctrl:1// 000000004094: 28BABAFA FF091865
	v_or_b32_dpp v94, v102, v94 row_shr:8 row_mask:0xf bank_mask:0xf bound_ctrl:1// 00000000409C: 28BCBCFA FF091866
	v_or_b32_dpp v95, v103, v95 row_shr:8 row_mask:0xf bank_mask:0xf bound_ctrl:1// 0000000040A4: 28BEBEFA FF091867
	buffer_load_dword v55, v53, s[36:39], 0 offen              // 0000000040AC: E0501000 80093735
	v_mul_f32_e32 v88, v46, v88                                // 0000000040B4: 0AB0B12E
	v_mul_f32_e32 v89, v46, v89                                // 0000000040B8: 0AB2B32E
	v_mul_f32_e32 v90, v46, v90                                // 0000000040BC: 0AB4B52E
	v_mul_f32_e32 v91, v46, v91                                // 0000000040C0: 0AB6B72E
	v_mul_f32_e32 v92, v46, v92                                // 0000000040C4: 0AB8B92E
	v_mul_f32_e32 v93, v46, v93                                // 0000000040C8: 0ABABB2E
	v_mul_f32_e32 v94, v46, v94                                // 0000000040CC: 0ABCBD2E
	v_mul_f32_e32 v95, v46, v95                                // 0000000040D0: 0ABEBF2E
	buffer_load_dwordx4 v[144:147], v24, s[16:19], 0 offen     // 0000000040D4: E05C1000 80049018
	v_mul_f32_dpp v88, v124, v88 quad_perm:[0,0,0,0] row_mask:0xf bank_mask:0xf// 0000000040DC: 0AB0B0FA FF00007C
	v_mul_f32_dpp v89, v124, v89 quad_perm:[1,1,1,1] row_mask:0xf bank_mask:0xf// 0000000040E4: 0AB2B2FA FF00557C
	v_mul_f32_dpp v90, v124, v90 quad_perm:[2,2,2,2] row_mask:0xf bank_mask:0xf// 0000000040EC: 0AB4B4FA FF00AA7C
	v_mul_f32_dpp v91, v124, v91 quad_perm:[3,3,3,3] row_mask:0xf bank_mask:0xf// 0000000040F4: 0AB6B6FA FF00FF7C
	v_mul_f32_dpp v92, v125, v92 quad_perm:[0,0,0,0] row_mask:0xf bank_mask:0xf// 0000000040FC: 0AB8B8FA FF00007D
	v_mul_f32_dpp v93, v125, v93 quad_perm:[1,1,1,1] row_mask:0xf bank_mask:0xf// 000000004104: 0ABABAFA FF00557D
	v_mul_f32_dpp v94, v125, v94 quad_perm:[2,2,2,2] row_mask:0xf bank_mask:0xf// 00000000410C: 0ABCBCFA FF00AA7D
	v_mul_f32_dpp v95, v125, v95 quad_perm:[3,3,3,3] row_mask:0xf bank_mask:0xf// 000000004114: 0ABEBEFA FF00FF7D
	buffer_load_dwordx4 v[148:151], v24, s[16:19], 0 offen offset:1024// 00000000411C: E05C1400 80049418
	v_mov_b32_e32 v48, v88                                     // 000000004124: 7E600358
	v_max3_f32 v48, v88, v89, v48                              // 000000004128: D1D30030 04C2B358
	v_max3_f32 v48, v90, v91, v48                              // 000000004130: D1D30030 04C2B75A
	v_max3_f32 v48, v92, v93, v48                              // 000000004138: D1D30030 04C2BB5C
	v_max3_f32 v48, v94, v95, v48                              // 000000004140: D1D30030 04C2BF5E
	ds_write_b32 v11, v48 offset:4224                          // 000000004148: D81A1080 0000300B
	buffer_load_dwordx4 v[152:155], v25, s[16:19], 0 offen     // 000000004150: E05C1000 80049819
	v_mul_u32_u24_dpp v38, v16, v51 row_newbcast:1 row_mask:0xf bank_mask:0xf// 000000004158: 104C66FA FF015110
	v_mul_u32_u24_dpp v39, v16, v51 row_newbcast:5 row_mask:0xf bank_mask:0xf// 000000004160: 104E66FA FF015510
	v_mul_u32_u24_dpp v40, v16, v51 row_newbcast:9 row_mask:0xf bank_mask:0xf// 000000004168: 105066FA FF015910
	v_mul_u32_u24_dpp v41, v16, v51 row_newbcast:13 row_mask:0xf bank_mask:0xf// 000000004170: 105266FA FF015D10
	v_add_u32_e32 v30, v38, v7                                 // 000000004178: 683C0F26
	v_add_u32_e32 v31, v39, v7                                 // 00000000417C: 683E0F27
	v_add_u32_e32 v32, v40, v7                                 // 000000004180: 68400F28
	v_add_u32_e32 v33, v41, v7                                 // 000000004184: 68420F29
	s_waitcnt lgkmcnt(0)                                       // 000000004188: BF8CC07F
	s_barrier                                                  // 00000000418C: BF8A0000
	ds_read_b32 v64, v10 offset:4224                           // 000000004190: D86C1080 4000000A
	ds_read_b32 v65, v10 offset:4288                           // 000000004198: D86C10C0 4100000A
	ds_read_b32 v66, v10 offset:4352                           // 0000000041A0: D86C1100 4200000A
	ds_read_b32 v67, v10 offset:4416                           // 0000000041A8: D86C1140 4300000A
	ds_read_b32 v68, v10 offset:4480                           // 0000000041B0: D86C1180 4400000A
	ds_read_b32 v69, v10 offset:4544                           // 0000000041B8: D86C11C0 4500000A
	ds_read_b32 v70, v10 offset:4608                           // 0000000041C0: D86C1200 4600000A
	ds_read_b32 v71, v10 offset:4672                           // 0000000041C8: D86C1240 4700000A
	ds_read_b32 v72, v10 offset:4736                           // 0000000041D0: D86C1280 4800000A
	ds_read_b32 v73, v10 offset:4800                           // 0000000041D8: D86C12C0 4900000A
	ds_read_b32 v74, v10 offset:4864                           // 0000000041E0: D86C1300 4A00000A
	ds_read_b32 v75, v10 offset:4928                           // 0000000041E8: D86C1340 4B00000A
	ds_read_b32 v76, v10 offset:4992                           // 0000000041F0: D86C1380 4C00000A
	ds_read_b32 v77, v10 offset:5056                           // 0000000041F8: D86C13C0 4D00000A
	ds_read_b32 v78, v10 offset:5120                           // 000000004200: D86C1400 4E00000A
	ds_read_b32 v79, v10 offset:5184                           // 000000004208: D86C1440 4F00000A
	buffer_load_dwordx4 v[156:159], v25, s[16:19], 0 offen offset:1024// 000000004210: E05C1400 80049C19
	v_mul_f32_e32 v112, v49, v112                              // 000000004218: 0AE0E131
	v_mul_f32_e32 v113, v49, v113                              // 00000000421C: 0AE2E331
	v_mul_f32_e32 v114, v49, v114                              // 000000004220: 0AE4E531
	v_mul_f32_e32 v115, v49, v115                              // 000000004224: 0AE6E731
	v_or_b32_dpp v104, v108, v104 row_shr:8 row_mask:0xf bank_mask:0xf bound_ctrl:1// 000000004228: 28D0D0FA FF09186C
	v_or_b32_dpp v105, v109, v105 row_shr:8 row_mask:0xf bank_mask:0xf bound_ctrl:1// 000000004230: 28D2D2FA FF09186D
	v_or_b32_dpp v106, v110, v106 row_shr:8 row_mask:0xf bank_mask:0xf bound_ctrl:1// 000000004238: 28D4D4FA FF09186E
	v_or_b32_dpp v107, v111, v107 row_shr:8 row_mask:0xf bank_mask:0xf bound_ctrl:1// 000000004240: 28D6D6FA FF09186F
	s_waitcnt lgkmcnt(0)                                       // 000000004248: BF8CC07F
	v_max3_f32 v48, v64, v65, v48                              // 00000000424C: D1D30030 04C28340
	v_max3_f32 v48, v66, v67, v48                              // 000000004254: D1D30030 04C28742
	v_max3_f32 v48, v68, v69, v48                              // 00000000425C: D1D30030 04C28B44
	v_max3_f32 v48, v70, v71, v48                              // 000000004264: D1D30030 04C28F46
	v_max3_f32 v48, v72, v73, v48                              // 00000000426C: D1D30030 04C29348
	v_max3_f32 v48, v74, v75, v48                              // 000000004274: D1D30030 04C2974A
	v_max3_f32 v48, v76, v77, v48                              // 00000000427C: D1D30030 04C29B4C
	v_max3_f32 v48, v78, v79, v48                              // 000000004284: D1D30030 04C29F4E
	buffer_load_dwordx4 v[192:195], v30, s[20:23], 0 offen     // 00000000428C: E05C1000 8005C01E
	v_cmp_eq_u32_e64 s[40:41], v52, v14                        // 000000004294: D0CA0028 00021D34
	s_nop 1                                                    // 00000000429C: BF800001
	v_mov_b32_dpp v38, v48 row_ror:8 row_mask:0xf bank_mask:0xf// 0000000042A0: 7E4C02FA FF012830
	v_max_f32_e32 v48, v48, v38                                // 0000000042A8: 16604D30
	v_max_f32_e32 v15, v48, v14                                // 0000000042AC: 161E1D30
	v_mul_f32_e32 v50, s64, v15                                // 0000000042B0: 0A641E40
	v_fma_f32 v88, v88, s64, -v50                              // 0000000042B4: D1CB0058 84C88158
	v_fma_f32 v89, v89, s64, -v50                              // 0000000042BC: D1CB0059 84C88159
	v_fma_f32 v90, v90, s64, -v50                              // 0000000042C4: D1CB005A 84C8815A
	v_fma_f32 v91, v91, s64, -v50                              // 0000000042CC: D1CB005B 84C8815B
	v_fma_f32 v92, v92, s64, -v50                              // 0000000042D4: D1CB005C 84C8815C
	v_fma_f32 v93, v93, s64, -v50                              // 0000000042DC: D1CB005D 84C8815D
	v_fma_f32 v94, v94, s64, -v50                              // 0000000042E4: D1CB005E 84C8815E
	v_fma_f32 v95, v95, s64, -v50                              // 0000000042EC: D1CB005F 84C8815F
	buffer_load_dwordx4 v[196:199], v31, s[20:23], 0 offen     // 0000000042F4: E05C1000 8005C41F
	v_exp_f32_e32 v88, v88                                     // 0000000042FC: 7EB04158
	v_exp_f32_e32 v89, v89                                     // 000000004300: 7EB24159
	v_exp_f32_e32 v90, v90                                     // 000000004304: 7EB4415A
	v_exp_f32_e32 v91, v91                                     // 000000004308: 7EB6415B
	v_exp_f32_e32 v92, v92                                     // 00000000430C: 7EB8415C
	v_exp_f32_e32 v93, v93                                     // 000000004310: 7EBA415D
	v_exp_f32_e32 v94, v94                                     // 000000004314: 7EBC415E
	v_exp_f32_e32 v95, v95                                     // 000000004318: 7EBE415F
	buffer_load_dwordx4 v[200:203], v32, s[20:23], 0 offen     // 00000000431C: E05C1000 8005C820
	v_mul_f32_dpp v116, v126, v88 quad_perm:[0,0,0,0] row_mask:0xf bank_mask:0xf// 000000004324: 0AE8B0FA FF00007E
	v_mul_f32_dpp v117, v126, v89 quad_perm:[1,1,1,1] row_mask:0xf bank_mask:0xf// 00000000432C: 0AEAB2FA FF00557E
	v_mul_f32_dpp v118, v126, v90 quad_perm:[2,2,2,2] row_mask:0xf bank_mask:0xf// 000000004334: 0AECB4FA FF00AA7E
	v_mul_f32_dpp v119, v126, v91 quad_perm:[3,3,3,3] row_mask:0xf bank_mask:0xf// 00000000433C: 0AEEB6FA FF00FF7E
	v_mul_f32_dpp v120, v127, v92 quad_perm:[0,0,0,0] row_mask:0xf bank_mask:0xf// 000000004344: 0AF0B8FA FF00007F
	v_mul_f32_dpp v121, v127, v93 quad_perm:[1,1,1,1] row_mask:0xf bank_mask:0xf// 00000000434C: 0AF2BAFA FF00557F
	v_mul_f32_dpp v122, v127, v94 quad_perm:[2,2,2,2] row_mask:0xf bank_mask:0xf// 000000004354: 0AF4BCFA FF00AA7F
	v_mul_f32_dpp v123, v127, v95 quad_perm:[3,3,3,3] row_mask:0xf bank_mask:0xf// 00000000435C: 0AF6BEFA FF00FF7F
	v_mov_b32_e32 v48, 0x358637bd                              // 000000004364: 7E6002FF 358637BD
	v_max3_f32 v48, |v116|, |v117|, v48                        // 00000000436C: D1D30330 04C2EB74
	v_max3_f32 v48, |v118|, |v119|, v48                        // 000000004374: D1D30330 04C2EF76
	v_max3_f32 v48, |v120|, |v121|, v48                        // 00000000437C: D1D30330 04C2F378
	v_max3_f32 v48, |v122|, |v123|, v48                        // 000000004384: D1D30330 04C2F77A
	buffer_load_dwordx4 v[204:207], v33, s[20:23], 0 offen     // 00000000438C: E05C1000 8005CC21
	ds_write_b32 v11, v48 offset:5248                          // 000000004394: D81A1480 0000300B
	v_sub_f32_e32 v49, v14, v15                                // 00000000439C: 04621F0E
	v_cndmask_b32_e64 v49, v49, 0, s[40:41]                    // 0000000043A0: D1000031 00A10131
	v_mov_b32_e32 v14, v15                                     // 0000000043A8: 7E1C030F
	v_mul_f32_e32 v49, s64, v49                                // 0000000043AC: 0A626240
	v_exp_f32_e32 v49, v49                                     // 0000000043B0: 7E624131
	s_waitcnt lgkmcnt(0)                                       // 0000000043B4: BF8CC07F
	s_barrier                                                  // 0000000043B8: BF8A0000
	ds_read_b32 v64, v10 offset:5248                           // 0000000043BC: D86C1480 4000000A
	ds_read_b32 v65, v10 offset:5312                           // 0000000043C4: D86C14C0 4100000A
	ds_read_b32 v66, v10 offset:5376                           // 0000000043CC: D86C1500 4200000A
	ds_read_b32 v67, v10 offset:5440                           // 0000000043D4: D86C1540 4300000A
	ds_read_b32 v68, v10 offset:5504                           // 0000000043DC: D86C1580 4400000A
	ds_read_b32 v69, v10 offset:5568                           // 0000000043E4: D86C15C0 4500000A
	ds_read_b32 v70, v10 offset:5632                           // 0000000043EC: D86C1600 4600000A
	ds_read_b32 v71, v10 offset:5696                           // 0000000043F4: D86C1640 4700000A
	ds_read_b32 v72, v10 offset:5760                           // 0000000043FC: D86C1680 4800000A
	ds_read_b32 v73, v10 offset:5824                           // 000000004404: D86C16C0 4900000A
	ds_read_b32 v74, v10 offset:5888                           // 00000000440C: D86C1700 4A00000A
	ds_read_b32 v75, v10 offset:5952                           // 000000004414: D86C1740 4B00000A
	ds_read_b32 v76, v10 offset:6016                           // 00000000441C: D86C1780 4C00000A
	ds_read_b32 v77, v10 offset:6080                           // 000000004424: D86C17C0 4D00000A
	ds_read_b32 v78, v10 offset:6144                           // 00000000442C: D86C1800 4E00000A
	ds_read_b32 v79, v10 offset:6208                           // 000000004434: D86C1840 4F00000A
	v_mul_f32_e32 v42, v49, v42                                // 00000000443C: 0A545531
	v_mov_b32_e32 v43, v88                                     // 000000004440: 7E560358
	v_add_f32_e32 v43, v89, v43                                // 000000004444: 02565759
	v_add_f32_e32 v43, v90, v43                                // 000000004448: 0256575A
	v_add_f32_e32 v43, v91, v43                                // 00000000444C: 0256575B
	v_add_f32_e32 v43, v92, v43                                // 000000004450: 0256575C
	v_add_f32_e32 v43, v93, v43                                // 000000004454: 0256575D
	v_add_f32_e32 v43, v94, v43                                // 000000004458: 0256575E
	v_add_f32_e32 v43, v95, v43                                // 00000000445C: 0256575F
	v_add_f32_e32 v42, v43, v42                                // 000000004460: 0254552B
	s_waitcnt lgkmcnt(0)                                       // 000000004464: BF8CC07F
	v_max3_f32 v48, |v64|, |v65|, v48                          // 000000004468: D1D30330 04C28340
	v_max3_f32 v48, |v66|, |v67|, v48                          // 000000004470: D1D30330 04C28742
	v_max3_f32 v48, |v68|, |v69|, v48                          // 000000004478: D1D30330 04C28B44
	v_max3_f32 v48, |v70|, |v71|, v48                          // 000000004480: D1D30330 04C28F46
	v_max3_f32 v48, |v72|, |v73|, v48                          // 000000004488: D1D30330 04C29348
	v_max3_f32 v48, |v74|, |v75|, v48                          // 000000004490: D1D30330 04C2974A
	v_max3_f32 v48, |v76|, |v77|, v48                          // 000000004498: D1D30330 04C29B4C
	v_max3_f32 v48, |v78|, |v79|, v48                          // 0000000044A0: D1D30330 04C29F4E
	s_nop 2                                                    // 0000000044A8: BF800002
	v_mov_b32_dpp v38, v48 row_ror:8 row_mask:0xf bank_mask:0xf// 0000000044AC: 7E4C02FA FF012830
	v_max_f32_e32 v48, v48, v38                                // 0000000044B4: 16604D30
	v_rcp_f32_e32 v48, v48                                     // 0000000044B8: 7E604530
	s_nop 1                                                    // 0000000044BC: BF800001
	v_mul_f32_e32 v48, 0x43700000, v48                         // 0000000044C0: 0A6060FF 43700000
	v_mul_f32_e32 v88, v48, v116                               // 0000000044C8: 0AB0E930
	v_mul_f32_e32 v89, v48, v117                               // 0000000044CC: 0AB2EB30
	v_mul_f32_e32 v90, v48, v118                               // 0000000044D0: 0AB4ED30
	v_mul_f32_e32 v91, v48, v119                               // 0000000044D4: 0AB6EF30
	v_mul_f32_e32 v92, v48, v120                               // 0000000044D8: 0AB8F130
	v_mul_f32_e32 v93, v48, v121                               // 0000000044DC: 0ABAF330
	v_mul_f32_e32 v94, v48, v122                               // 0000000044E0: 0ABCF530
	v_mul_f32_e32 v95, v48, v123                               // 0000000044E4: 0ABEF730
	v_cvt_pk_fp8_f32 v88, v88, v89                             // 0000000044E8: D2A20058 0002B358
	v_cvt_pk_fp8_f32 v88, v90, v91 op_sel:[0,0,1]              // 0000000044F0: D2A24058 0002B75A
	v_cvt_pk_fp8_f32 v89, v92, v93                             // 0000000044F8: D2A20059 0002BB5C
	v_cvt_pk_fp8_f32 v89, v94, v95 op_sel:[0,0,1]              // 000000004500: D2A24059 0002BF5E
	ds_write_b32 v13, v88 offset:6272                          // 000000004508: D81A1880 0000580D
	ds_write_b32 v13, v89 offset:7296                          // 000000004510: D81A1C80 0000590D
	v_mul_f32_e32 v104, v47, v104                              // 000000004518: 0AD0D12F
	v_mul_f32_e32 v105, v47, v105                              // 00000000451C: 0AD2D32F
	v_mul_f32_e32 v106, v47, v106                              // 000000004520: 0AD4D52F
	v_mul_f32_e32 v107, v47, v107                              // 000000004524: 0AD6D72F
	v_rcp_f32_e32 v47, v48                                     // 000000004528: 7E5E4530
	s_waitcnt lgkmcnt(0)                                       // 00000000452C: BF8CC07F
	s_barrier                                                  // 000000004530: BF8A0000
	ds_read_b64 v[88:89], v12 offset:6272                      // 000000004534: D8EC1880 5800000C
	ds_read_b64 v[90:91], v12 offset:6400                      // 00000000453C: D8EC1900 5A00000C
	ds_read_b64 v[92:93], v12 offset:7296                      // 000000004544: D8EC1C80 5C00000C
	ds_read_b64 v[94:95], v12 offset:7424                      // 00000000454C: D8EC1D00 5E00000C
	v_add_f32_e32 v112, v112, v104                             // 000000004554: 02E0D170
	v_add_f32_e32 v113, v113, v105                             // 000000004558: 02E2D371
	v_add_f32_e32 v114, v114, v106                             // 00000000455C: 02E4D572
	v_add_f32_e32 v115, v115, v107                             // 000000004560: 02E6D773
	s_waitcnt lgkmcnt(3)                                       // 000000004564: BF8CC37F
	v_mov_b32_dpp v96, v88 row_shl:8 row_mask:0xf bank_mask:0xf bound_ctrl:1// 000000004568: 7EC002FA FF090858
	v_and_b32_e32 v88, v88, v9                                 // 000000004570: 26B01358
	v_mov_b32_dpp v97, v89 row_shl:8 row_mask:0xf bank_mask:0xf bound_ctrl:1// 000000004574: 7EC202FA FF090859
	v_and_b32_e32 v89, v89, v9                                 // 00000000457C: 26B21359
	s_waitcnt lgkmcnt(2)                                       // 000000004580: BF8CC27F
	v_mov_b32_dpp v98, v90 row_shl:8 row_mask:0xf bank_mask:0xf bound_ctrl:1// 000000004584: 7EC402FA FF09085A
	v_and_b32_e32 v90, v90, v9                                 // 00000000458C: 26B4135A
	v_mov_b32_dpp v99, v91 row_shl:8 row_mask:0xf bank_mask:0xf bound_ctrl:1// 000000004590: 7EC602FA FF09085B
	v_and_b32_e32 v91, v91, v9                                 // 000000004598: 26B6135B
	s_waitcnt lgkmcnt(1)                                       // 00000000459C: BF8CC17F
	v_mov_b32_dpp v100, v92 row_shl:8 row_mask:0xf bank_mask:0xf bound_ctrl:1// 0000000045A0: 7EC802FA FF09085C
	v_and_b32_e32 v92, v92, v9                                 // 0000000045A8: 26B8135C
	v_mov_b32_dpp v101, v93 row_shl:8 row_mask:0xf bank_mask:0xf bound_ctrl:1// 0000000045AC: 7ECA02FA FF09085D
	v_and_b32_e32 v93, v93, v9                                 // 0000000045B4: 26BA135D
	s_waitcnt lgkmcnt(0)                                       // 0000000045B8: BF8CC07F
	v_mov_b32_dpp v102, v94 row_shl:8 row_mask:0xf bank_mask:0xf bound_ctrl:1// 0000000045BC: 7ECC02FA FF09085E
	v_and_b32_e32 v94, v94, v9                                 // 0000000045C4: 26BC135E
	v_mov_b32_dpp v103, v95 row_shl:8 row_mask:0xf bank_mask:0xf bound_ctrl:1// 0000000045C8: 7ECE02FA FF09085F
	v_and_b32_e32 v95, v95, v9                                 // 0000000045D0: 26BE135F
	s_waitcnt vmcnt(15)                                        // 0000000045D4: BF8C0F7F
	v_mfma_f32_16x16x32_fp8_fp8 v[104:107], v[224:225], v[88:89], 0// 0000000045D8: D3F30068 0202B1E0
	buffer_load_dwordx4 v[208:211], v30, s[20:23], 0 offen offset:1024// 0000000045E0: E05C1400 8005D01E
	v_mfma_f32_16x16x32_fp8_fp8 v[104:107], v[226:227], v[90:91], v[104:107]// 0000000045E8: D3F30068 05A2B5E2
	v_mfma_f32_16x16x32_fp8_fp8 v[104:107], v[228:229], v[92:93], v[104:107]// 0000000045F0: D3F30068 05A2B9E4
	v_mfma_f32_16x16x32_fp8_fp8 v[104:107], v[230:231], v[94:95], v[104:107]// 0000000045F8: D3F30068 05A2BDE6
	v_mfma_f32_16x16x32_fp8_fp8 v[104:107], v[232:233], v[96:97], v[104:107]// 000000004600: D3F30068 05A2C1E8
	buffer_load_dwordx4 v[212:215], v31, s[20:23], 0 offen offset:1024// 000000004608: E05C1400 8005D41F
	v_mfma_f32_16x16x32_fp8_fp8 v[104:107], v[234:235], v[98:99], v[104:107]// 000000004610: D3F30068 05A2C5EA
	v_mfma_f32_16x16x32_fp8_fp8 v[104:107], v[236:237], v[100:101], v[104:107]// 000000004618: D3F30068 05A2C9EC
	v_mfma_f32_16x16x32_fp8_fp8 v[104:107], v[238:239], v[102:103], v[104:107]// 000000004620: D3F30068 05A2CDEE
	v_mfma_f32_16x16x32_fp8_fp8 v[108:111], v[240:241], v[88:89], 0// 000000004628: D3F3006C 0202B1F0
	buffer_load_dwordx4 v[216:219], v32, s[20:23], 0 offen offset:1024// 000000004630: E05C1400 8005D820
	v_mfma_f32_16x16x32_fp8_fp8 v[108:111], v[242:243], v[90:91], v[108:111]// 000000004638: D3F3006C 05B2B5F2
	v_mfma_f32_16x16x32_fp8_fp8 v[108:111], v[244:245], v[92:93], v[108:111]// 000000004640: D3F3006C 05B2B9F4
	v_mfma_f32_16x16x32_fp8_fp8 v[108:111], v[246:247], v[94:95], v[108:111]// 000000004648: D3F3006C 05B2BDF6
	v_mfma_f32_16x16x32_fp8_fp8 v[108:111], v[248:249], v[96:97], v[108:111]// 000000004650: D3F3006C 05B2C1F8
	buffer_load_dwordx4 v[220:223], v33, s[20:23], 0 offen offset:1024// 000000004658: E05C1400 8005DC21
	v_mfma_f32_16x16x32_fp8_fp8 v[108:111], v[250:251], v[98:99], v[108:111]// 000000004660: D3F3006C 05B2C5FA
	v_mfma_f32_16x16x32_fp8_fp8 v[108:111], v[252:253], v[100:101], v[108:111]// 000000004668: D3F3006C 05B2C9FC
	s_lshr_b32 s57, s70, 4                                     // 000000004670: 8F398446
	s_add_u32 s57, 48, s57                                     // 000000004674: 803939B0
	v_mfma_f32_16x16x32_fp8_fp8 v[108:111], v[254:255], v[102:103], v[108:111]// 000000004678: D3F3006C 05B2CDFE
	s_cmp_ge_u32 s57, s73                                      // 000000004680: BF094939
	s_cselect_b32 s56, 0, s56                                  // 000000004684: 85383880
	v_add_u32_e32 v1, s56, v1                                  // 000000004688: 68020238
	s_addk_i32 s70, 0x100                                      // 00000000468C: B7460100
	s_cmp_lt_i32 s70, s71                                      // 000000004690: BF044746
	s_cbranch_scc0 label_05AF                                  // 000000004694: BF84FC49
	s_branch label_05B2                                        // 000000004698: BF82FC4B

000000000000469c <label_0967>:
	s_lshr_b32 s60, s71, 4                                     // 00000000469C: 8F3C8447
	s_cmp_eq_i32 s60, s73                                      // 0000000046A0: BF00493C
	s_cbranch_scc1 label_0F39                                  // 0000000046A4: BF8505CF
	v_and_b32_e32 v38, 15, v0                                  // 0000000046A8: 264C008F
	v_lshlrev_b32_e32 v38, 3, v38                              // 0000000046AC: 244C4C83
	v_lshrrev_b32_e32 v39, 4, v0                               // 0000000046B0: 204E0084
	v_lshlrev_b32_e32 v39, 9, v39                              // 0000000046B4: 244E4E89
	v_add_u32_e32 v12, v39, v38                                // 0000000046B8: 68184D27
	v_lshlrev_b32_e32 v38, 3, v0                               // 0000000046BC: 244C0083
	s_mul_i32 s60, 0x200, s7                                   // 0000000046C0: 923C07FF 00000200
	v_add_u32_e64 v13, v38, s60                                // 0000000046C8: D134000D 00007926
	s_lshr_b32 s60, s71, 8                                     // 0000000046D0: 8F3C8847
	s_and_b32 s60, s60, 1                                      // 0000000046D4: 863C813C
	s_cmp_eq_i32 s60, 1                                        // 0000000046D8: BF00813C
	s_cbranch_scc1 label_0C50                                  // 0000000046DC: BF8502D8
	s_waitcnt vmcnt(8) lgkmcnt(0)                              // 0000000046E0: BF8C0078
	s_barrier                                                  // 0000000046E4: BF8A0000
	v_mfma_f32_16x16x32_fp8_fp8 v[88:91], v[128:129], v[80:81], 0// 0000000046E8: D3F30058 0202A180
	v_mfma_f32_16x16x32_fp8_fp8 v[88:91], v[130:131], v[82:83], v[88:91]// 0000000046F0: D3F30058 0562A582
	v_mfma_f32_16x16x32_fp8_fp8 v[88:91], v[132:133], v[84:85], v[88:91]// 0000000046F8: D3F30058 0562A984
	v_mfma_f32_16x16x32_fp8_fp8 v[88:91], v[134:135], v[86:87], v[88:91]// 000000004700: D3F30058 0562AD86
	v_mfma_f32_16x16x32_fp8_fp8 v[92:95], v[136:137], v[80:81], 0// 000000004708: D3F3005C 0202A188
	v_mfma_f32_16x16x32_fp8_fp8 v[92:95], v[138:139], v[82:83], v[92:95]// 000000004710: D3F3005C 0572A58A
	v_mfma_f32_16x16x32_fp8_fp8 v[92:95], v[140:141], v[84:85], v[92:95]// 000000004718: D3F3005C 0572A98C
	v_mfma_f32_16x16x32_fp8_fp8 v[92:95], v[142:143], v[86:87], v[92:95]// 000000004720: D3F3005C 0572AD8E
	v_mfma_f32_16x16x32_fp8_fp8 v[96:99], v[144:145], v[80:81], 0// 000000004728: D3F30060 0202A190
	v_mfma_f32_16x16x32_fp8_fp8 v[96:99], v[146:147], v[82:83], v[96:99]// 000000004730: D3F30060 0582A592
	v_mfma_f32_16x16x32_fp8_fp8 v[96:99], v[148:149], v[84:85], v[96:99]// 000000004738: D3F30060 0582A994
	v_mfma_f32_16x16x32_fp8_fp8 v[96:99], v[150:151], v[86:87], v[96:99]// 000000004740: D3F30060 0582AD96
	v_mfma_f32_16x16x32_fp8_fp8 v[100:103], v[152:153], v[80:81], 0// 000000004748: D3F30064 0202A198
	v_mfma_f32_16x16x32_fp8_fp8 v[100:103], v[154:155], v[82:83], v[100:103]// 000000004750: D3F30064 0592A59A
	v_mfma_f32_16x16x32_fp8_fp8 v[100:103], v[156:157], v[84:85], v[100:103]// 000000004758: D3F30064 0592A99C
	v_mfma_f32_16x16x32_fp8_fp8 v[100:103], v[158:159], v[86:87], v[100:103]// 000000004760: D3F30064 0592AD9E
	v_mov_b32_dpp v38, v44 row_shr:4 row_mask:0xf bank_mask:0xf// 000000004768: 7E4C02FA FF01142C
	v_mov_b32_dpp v39, v44 row_shl:4 row_mask:0xf bank_mask:0xf// 000000004770: 7E4E02FA FF01042C
	v_cndmask_b32_e64 v124, v44, v38, s[44:45]                 // 000000004778: D100007C 00B24D2C
	v_cndmask_b32_e64 v125, v39, v44, s[44:45]                 // 000000004780: D100007D 00B25927
	v_mov_b32_dpp v38, v55 row_shr:4 row_mask:0xf bank_mask:0xf// 000000004788: 7E4C02FA FF011437
	v_mov_b32_dpp v39, v55 row_shl:4 row_mask:0xf bank_mask:0xf// 000000004790: 7E4E02FA FF010437
	v_cndmask_b32_e64 v126, v55, v38, s[44:45]                 // 000000004798: D100007E 00B24D37
	v_cndmask_b32_e64 v127, v39, v55, s[44:45]                 // 0000000047A0: D100007F 00B26F27
	v_or_b32_dpp v88, v96, v88 row_shr:8 row_mask:0xf bank_mask:0xf bound_ctrl:1// 0000000047A8: 28B0B0FA FF091860
	v_or_b32_dpp v89, v97, v89 row_shr:8 row_mask:0xf bank_mask:0xf bound_ctrl:1// 0000000047B0: 28B2B2FA FF091861
	v_or_b32_dpp v90, v98, v90 row_shr:8 row_mask:0xf bank_mask:0xf bound_ctrl:1// 0000000047B8: 28B4B4FA FF091862
	v_or_b32_dpp v91, v99, v91 row_shr:8 row_mask:0xf bank_mask:0xf bound_ctrl:1// 0000000047C0: 28B6B6FA FF091863
	v_or_b32_dpp v92, v100, v92 row_shr:8 row_mask:0xf bank_mask:0xf bound_ctrl:1// 0000000047C8: 28B8B8FA FF091864
	v_or_b32_dpp v93, v101, v93 row_shr:8 row_mask:0xf bank_mask:0xf bound_ctrl:1// 0000000047D0: 28BABAFA FF091865
	v_or_b32_dpp v94, v102, v94 row_shr:8 row_mask:0xf bank_mask:0xf bound_ctrl:1// 0000000047D8: 28BCBCFA FF091866
	v_or_b32_dpp v95, v103, v95 row_shr:8 row_mask:0xf bank_mask:0xf bound_ctrl:1// 0000000047E0: 28BEBEFA FF091867
	v_mul_f32_e32 v88, v46, v88                                // 0000000047E8: 0AB0B12E
	v_mul_f32_e32 v89, v46, v89                                // 0000000047EC: 0AB2B32E
	v_mul_f32_e32 v90, v46, v90                                // 0000000047F0: 0AB4B52E
	v_mul_f32_e32 v91, v46, v91                                // 0000000047F4: 0AB6B72E
	v_mul_f32_e32 v92, v46, v92                                // 0000000047F8: 0AB8B92E
	v_mul_f32_e32 v93, v46, v93                                // 0000000047FC: 0ABABB2E
	v_mul_f32_e32 v94, v46, v94                                // 000000004800: 0ABCBD2E
	v_mul_f32_e32 v95, v46, v95                                // 000000004804: 0ABEBF2E
	v_mul_f32_dpp v88, v124, v88 quad_perm:[0,0,0,0] row_mask:0xf bank_mask:0xf// 000000004808: 0AB0B0FA FF00007C
	v_mul_f32_dpp v89, v124, v89 quad_perm:[1,1,1,1] row_mask:0xf bank_mask:0xf// 000000004810: 0AB2B2FA FF00557C
	v_mul_f32_dpp v90, v124, v90 quad_perm:[2,2,2,2] row_mask:0xf bank_mask:0xf// 000000004818: 0AB4B4FA FF00AA7C
	v_mul_f32_dpp v91, v124, v91 quad_perm:[3,3,3,3] row_mask:0xf bank_mask:0xf// 000000004820: 0AB6B6FA FF00FF7C
	v_mul_f32_dpp v92, v125, v92 quad_perm:[0,0,0,0] row_mask:0xf bank_mask:0xf// 000000004828: 0AB8B8FA FF00007D
	v_mul_f32_dpp v93, v125, v93 quad_perm:[1,1,1,1] row_mask:0xf bank_mask:0xf// 000000004830: 0ABABAFA FF00557D
	v_mul_f32_dpp v94, v125, v94 quad_perm:[2,2,2,2] row_mask:0xf bank_mask:0xf// 000000004838: 0ABCBCFA FF00AA7D
	v_mul_f32_dpp v95, v125, v95 quad_perm:[3,3,3,3] row_mask:0xf bank_mask:0xf// 000000004840: 0ABEBEFA FF00FF7D
	s_and_b32 s60, s72, 0xff                                   // 000000004848: 863CFF48 000000FF
	v_mov_b32_e32 v62, s60                                     // 000000004850: 7E7C023C
	v_lshrrev_b32_e32 v116, 4, v0                              // 000000004854: 20E80084
	v_mul_i32_i24_e32 v116, 4, v116                            // 000000004858: 0CE8E884
	v_and_b32_e32 v38, 15, v0                                  // 00000000485C: 264C008F
	v_lshrrev_b32_e32 v38, 3, v38                              // 000000004860: 204C4C83
	v_mul_i32_i24_e32 v38, 0x80, v38                           // 000000004864: 0C4C4CFF 00000080
	v_add_u32_e32 v116, v38, v116                              // 00000000486C: 68E8E926
	s_mul_i32 s60, s7, 16                                      // 000000004870: 923C9007
	v_add_u32_e32 v116, s60, v116                              // 000000004874: 68E8E83C
	v_add_u32_e32 v117, 1, v116                                // 000000004878: 68EAE881
	v_add_u32_e32 v118, 2, v116                                // 00000000487C: 68ECE882
	v_add_u32_e32 v119, 3, v116                                // 000000004880: 68EEE883
	v_cmp_lt_u32_e64 s[40:41], v116, v62                       // 000000004884: D0C90028 00027D74
	v_add_u32_e32 v116, 64, v116                               // 00000000488C: 68E8E8C0
	s_nop 0                                                    // 000000004890: BF800000
	v_cndmask_b32_e64 v88, v52, v88, s[40:41]                  // 000000004894: D1000058 00A2B134
	v_cmp_lt_u32_e64 s[40:41], v117, v62                       // 00000000489C: D0C90028 00027D75
	v_add_u32_e32 v117, 64, v117                               // 0000000048A4: 68EAEAC0
	s_nop 0                                                    // 0000000048A8: BF800000
	v_cndmask_b32_e64 v89, v52, v89, s[40:41]                  // 0000000048AC: D1000059 00A2B334
	v_cmp_lt_u32_e64 s[40:41], v118, v62                       // 0000000048B4: D0C90028 00027D76
	v_add_u32_e32 v118, 64, v118                               // 0000000048BC: 68ECECC0
	s_nop 0                                                    // 0000000048C0: BF800000
	v_cndmask_b32_e64 v90, v52, v90, s[40:41]                  // 0000000048C4: D100005A 00A2B534
	v_cmp_lt_u32_e64 s[40:41], v119, v62                       // 0000000048CC: D0C90028 00027D77
	v_add_u32_e32 v119, 64, v119                               // 0000000048D4: 68EEEEC0
	s_nop 0                                                    // 0000000048D8: BF800000
	v_cndmask_b32_e64 v91, v52, v91, s[40:41]                  // 0000000048DC: D100005B 00A2B734
	v_cmp_lt_u32_e64 s[40:41], v116, v62                       // 0000000048E4: D0C90028 00027D74
	v_add_u32_e32 v116, 64, v116                               // 0000000048EC: 68E8E8C0
	s_nop 0                                                    // 0000000048F0: BF800000
	v_cndmask_b32_e64 v92, v52, v92, s[40:41]                  // 0000000048F4: D100005C 00A2B934
	v_cmp_lt_u32_e64 s[40:41], v117, v62                       // 0000000048FC: D0C90028 00027D75
	v_add_u32_e32 v117, 64, v117                               // 000000004904: 68EAEAC0
	s_nop 0                                                    // 000000004908: BF800000
	v_cndmask_b32_e64 v93, v52, v93, s[40:41]                  // 00000000490C: D100005D 00A2BB34
	v_cmp_lt_u32_e64 s[40:41], v118, v62                       // 000000004914: D0C90028 00027D76
	v_add_u32_e32 v118, 64, v118                               // 00000000491C: 68ECECC0
	s_nop 0                                                    // 000000004920: BF800000
	v_cndmask_b32_e64 v94, v52, v94, s[40:41]                  // 000000004924: D100005E 00A2BD34
	v_cmp_lt_u32_e64 s[40:41], v119, v62                       // 00000000492C: D0C90028 00027D77
	v_add_u32_e32 v119, 64, v119                               // 000000004934: 68EEEEC0
	s_nop 0                                                    // 000000004938: BF800000
	v_cndmask_b32_e64 v95, v52, v95, s[40:41]                  // 00000000493C: D100005F 00A2BF34
	v_mov_b32_e32 v48, v88                                     // 000000004944: 7E600358
	v_max3_f32 v48, v88, v89, v48                              // 000000004948: D1D30030 04C2B358
	v_max3_f32 v48, v90, v91, v48                              // 000000004950: D1D30030 04C2B75A
	v_max3_f32 v48, v92, v93, v48                              // 000000004958: D1D30030 04C2BB5C
	v_max3_f32 v48, v94, v95, v48                              // 000000004960: D1D30030 04C2BF5E
	ds_write_b32 v11, v48 offset:4224                          // 000000004968: D81A1080 0000300B
	v_mul_u32_u24_dpp v38, v17, v51 row_newbcast:1 row_mask:0xf bank_mask:0xf// 000000004970: 104C66FA FF015111
	v_mul_u32_u24_dpp v39, v17, v51 row_newbcast:5 row_mask:0xf bank_mask:0xf// 000000004978: 104E66FA FF015511
	v_mul_u32_u24_dpp v40, v17, v51 row_newbcast:9 row_mask:0xf bank_mask:0xf// 000000004980: 105066FA FF015911
	v_mul_u32_u24_dpp v41, v17, v51 row_newbcast:13 row_mask:0xf bank_mask:0xf// 000000004988: 105266FA FF015D11
	v_add_u32_e32 v34, v38, v7                                 // 000000004990: 68440F26
	v_add_u32_e32 v35, v39, v7                                 // 000000004994: 68460F27
	v_add_u32_e32 v36, v40, v7                                 // 000000004998: 68480F28
	v_add_u32_e32 v37, v41, v7                                 // 00000000499C: 684A0F29
	s_waitcnt lgkmcnt(0)                                       // 0000000049A0: BF8CC07F
	s_barrier                                                  // 0000000049A4: BF8A0000
	ds_read_b32 v64, v10 offset:4224                           // 0000000049A8: D86C1080 4000000A
	ds_read_b32 v65, v10 offset:4288                           // 0000000049B0: D86C10C0 4100000A
	ds_read_b32 v66, v10 offset:4352                           // 0000000049B8: D86C1100 4200000A
	ds_read_b32 v67, v10 offset:4416                           // 0000000049C0: D86C1140 4300000A
	ds_read_b32 v68, v10 offset:4480                           // 0000000049C8: D86C1180 4400000A
	ds_read_b32 v69, v10 offset:4544                           // 0000000049D0: D86C11C0 4500000A
	ds_read_b32 v70, v10 offset:4608                           // 0000000049D8: D86C1200 4600000A
	ds_read_b32 v71, v10 offset:4672                           // 0000000049E0: D86C1240 4700000A
	ds_read_b32 v72, v10 offset:4736                           // 0000000049E8: D86C1280 4800000A
	ds_read_b32 v73, v10 offset:4800                           // 0000000049F0: D86C12C0 4900000A
	ds_read_b32 v74, v10 offset:4864                           // 0000000049F8: D86C1300 4A00000A
	ds_read_b32 v75, v10 offset:4928                           // 000000004A00: D86C1340 4B00000A
	ds_read_b32 v76, v10 offset:4992                           // 000000004A08: D86C1380 4C00000A
	ds_read_b32 v77, v10 offset:5056                           // 000000004A10: D86C13C0 4D00000A
	ds_read_b32 v78, v10 offset:5120                           // 000000004A18: D86C1400 4E00000A
	ds_read_b32 v79, v10 offset:5184                           // 000000004A20: D86C1440 4F00000A
	v_mul_f32_e32 v112, v49, v112                              // 000000004A28: 0AE0E131
	v_mul_f32_e32 v113, v49, v113                              // 000000004A2C: 0AE2E331
	v_mul_f32_e32 v114, v49, v114                              // 000000004A30: 0AE4E531
	v_mul_f32_e32 v115, v49, v115                              // 000000004A34: 0AE6E731
	v_or_b32_dpp v104, v108, v104 row_shr:8 row_mask:0xf bank_mask:0xf bound_ctrl:1// 000000004A38: 28D0D0FA FF09186C
	v_or_b32_dpp v105, v109, v105 row_shr:8 row_mask:0xf bank_mask:0xf bound_ctrl:1// 000000004A40: 28D2D2FA FF09186D
	v_or_b32_dpp v106, v110, v106 row_shr:8 row_mask:0xf bank_mask:0xf bound_ctrl:1// 000000004A48: 28D4D4FA FF09186E
	v_or_b32_dpp v107, v111, v107 row_shr:8 row_mask:0xf bank_mask:0xf bound_ctrl:1// 000000004A50: 28D6D6FA FF09186F
	s_waitcnt lgkmcnt(0)                                       // 000000004A58: BF8CC07F
	v_max3_f32 v48, v64, v65, v48                              // 000000004A5C: D1D30030 04C28340
	v_max3_f32 v48, v66, v67, v48                              // 000000004A64: D1D30030 04C28742
	v_max3_f32 v48, v68, v69, v48                              // 000000004A6C: D1D30030 04C28B44
	v_max3_f32 v48, v70, v71, v48                              // 000000004A74: D1D30030 04C28F46
	v_max3_f32 v48, v72, v73, v48                              // 000000004A7C: D1D30030 04C29348
	v_max3_f32 v48, v74, v75, v48                              // 000000004A84: D1D30030 04C2974A
	v_max3_f32 v48, v76, v77, v48                              // 000000004A8C: D1D30030 04C29B4C
	v_max3_f32 v48, v78, v79, v48                              // 000000004A94: D1D30030 04C29F4E
	v_cmp_eq_u32_e64 s[40:41], v52, v14                        // 000000004A9C: D0CA0028 00021D34
	s_nop 1                                                    // 000000004AA4: BF800001
	v_mov_b32_dpp v38, v48 row_ror:8 row_mask:0xf bank_mask:0xf// 000000004AA8: 7E4C02FA FF012830
	v_max_f32_e32 v48, v48, v38                                // 000000004AB0: 16604D30
	v_max_f32_e32 v15, v48, v14                                // 000000004AB4: 161E1D30
	v_mul_f32_e32 v50, s64, v15                                // 000000004AB8: 0A641E40
	v_fma_f32 v88, v88, s64, -v50                              // 000000004ABC: D1CB0058 84C88158
	v_fma_f32 v89, v89, s64, -v50                              // 000000004AC4: D1CB0059 84C88159
	v_fma_f32 v90, v90, s64, -v50                              // 000000004ACC: D1CB005A 84C8815A
	v_fma_f32 v91, v91, s64, -v50                              // 000000004AD4: D1CB005B 84C8815B
	v_fma_f32 v92, v92, s64, -v50                              // 000000004ADC: D1CB005C 84C8815C
	v_fma_f32 v93, v93, s64, -v50                              // 000000004AE4: D1CB005D 84C8815D
	v_fma_f32 v94, v94, s64, -v50                              // 000000004AEC: D1CB005E 84C8815E
	v_fma_f32 v95, v95, s64, -v50                              // 000000004AF4: D1CB005F 84C8815F
	v_exp_f32_e32 v88, v88                                     // 000000004AFC: 7EB04158
	v_exp_f32_e32 v89, v89                                     // 000000004B00: 7EB24159
	v_exp_f32_e32 v90, v90                                     // 000000004B04: 7EB4415A
	v_exp_f32_e32 v91, v91                                     // 000000004B08: 7EB6415B
	v_exp_f32_e32 v92, v92                                     // 000000004B0C: 7EB8415C
	v_exp_f32_e32 v93, v93                                     // 000000004B10: 7EBA415D
	v_exp_f32_e32 v94, v94                                     // 000000004B14: 7EBC415E
	v_exp_f32_e32 v95, v95                                     // 000000004B18: 7EBE415F
	v_mul_f32_dpp v116, v126, v88 quad_perm:[0,0,0,0] row_mask:0xf bank_mask:0xf// 000000004B1C: 0AE8B0FA FF00007E
	v_mul_f32_dpp v117, v126, v89 quad_perm:[1,1,1,1] row_mask:0xf bank_mask:0xf// 000000004B24: 0AEAB2FA FF00557E
	v_mul_f32_dpp v118, v126, v90 quad_perm:[2,2,2,2] row_mask:0xf bank_mask:0xf// 000000004B2C: 0AECB4FA FF00AA7E
	v_mul_f32_dpp v119, v126, v91 quad_perm:[3,3,3,3] row_mask:0xf bank_mask:0xf// 000000004B34: 0AEEB6FA FF00FF7E
	v_mul_f32_dpp v120, v127, v92 quad_perm:[0,0,0,0] row_mask:0xf bank_mask:0xf// 000000004B3C: 0AF0B8FA FF00007F
	v_mul_f32_dpp v121, v127, v93 quad_perm:[1,1,1,1] row_mask:0xf bank_mask:0xf// 000000004B44: 0AF2BAFA FF00557F
	v_mul_f32_dpp v122, v127, v94 quad_perm:[2,2,2,2] row_mask:0xf bank_mask:0xf// 000000004B4C: 0AF4BCFA FF00AA7F
	v_mul_f32_dpp v123, v127, v95 quad_perm:[3,3,3,3] row_mask:0xf bank_mask:0xf// 000000004B54: 0AF6BEFA FF00FF7F
	v_sub_f32_e32 v49, v14, v15                                // 000000004B5C: 04621F0E
	v_cndmask_b32_e64 v49, v49, 0, s[40:41]                    // 000000004B60: D1000031 00A10131
	v_mov_b32_e32 v14, v15                                     // 000000004B68: 7E1C030F
	v_mul_f32_e32 v49, s64, v49                                // 000000004B6C: 0A626240
	v_exp_f32_e32 v49, v49                                     // 000000004B70: 7E624131
	s_nop 2                                                    // 000000004B74: BF800002
	v_mul_f32_e32 v42, v49, v42                                // 000000004B78: 0A545531
	v_mov_b32_e32 v43, v88                                     // 000000004B7C: 7E560358
	v_add_f32_e32 v43, v89, v43                                // 000000004B80: 02565759
	v_add_f32_e32 v43, v90, v43                                // 000000004B84: 0256575A
	v_add_f32_e32 v43, v91, v43                                // 000000004B88: 0256575B
	v_add_f32_e32 v43, v92, v43                                // 000000004B8C: 0256575C
	v_add_f32_e32 v43, v93, v43                                // 000000004B90: 0256575D
	v_add_f32_e32 v43, v94, v43                                // 000000004B94: 0256575E
	v_add_f32_e32 v43, v95, v43                                // 000000004B98: 0256575F
	v_add_f32_e32 v42, v43, v42                                // 000000004B9C: 0254552B
	v_perm_b32 v88, v117, v116, s52                            // 000000004BA0: D1ED0058 00D2E975
	v_perm_b32 v89, v119, v118, s52                            // 000000004BA8: D1ED0059 00D2ED77
	v_perm_b32 v90, v121, v120, s52                            // 000000004BB0: D1ED005A 00D2F179
	v_perm_b32 v91, v123, v122, s52                            // 000000004BB8: D1ED005B 00D2F57B
	s_nop 2                                                    // 000000004BC0: BF800002
	v_mov_b32_dpp v38, v48 row_ror:8 row_mask:0xf bank_mask:0xf// 000000004BC4: 7E4C02FA FF012830
	v_max_f32_e32 v48, v48, v38                                // 000000004BCC: 16604D30
	ds_write_b64 v13, v[88:89] offset:6272                     // 000000004BD0: D89A1880 0000580D
	ds_write_b64 v13, v[90:91] offset:8320                     // 000000004BD8: D89A2080 00005A0D
	v_mul_f32_e32 v104, v47, v104                              // 000000004BE0: 0AD0D12F
	v_mul_f32_e32 v105, v47, v105                              // 000000004BE4: 0AD2D32F
	v_mul_f32_e32 v106, v47, v106                              // 000000004BE8: 0AD4D52F
	v_mul_f32_e32 v107, v47, v107                              // 000000004BEC: 0AD6D72F
	s_waitcnt vmcnt(4)                                         // 000000004BF0: BF8C0F74
	v_cvt_pk_f32_fp8_sdwa v[38:39], v192 src0_sel:WORD_0       // 000000004BF4: 7E4CACF9 000406C0
	v_cvt_pk_f32_fp8_sdwa v[40:41], v192 src0_sel:WORD_1       // 000000004BFC: 7E50ACF9 000506C0
	v_perm_b32 v128, v39, v38, s52                             // 000000004C04: D1ED0080 00D24D27
	v_perm_b32 v129, v41, v40, s52                             // 000000004C0C: D1ED0081 00D25129
	v_cvt_pk_f32_fp8_sdwa v[38:39], v193 src0_sel:WORD_0       // 000000004C14: 7E4CACF9 000406C1
	v_cvt_pk_f32_fp8_sdwa v[40:41], v193 src0_sel:WORD_1       // 000000004C1C: 7E50ACF9 000506C1
	v_perm_b32 v130, v39, v38, s52                             // 000000004C24: D1ED0082 00D24D27
	v_perm_b32 v131, v41, v40, s52                             // 000000004C2C: D1ED0083 00D25129
	v_cvt_pk_f32_fp8_sdwa v[38:39], v194 src0_sel:WORD_0       // 000000004C34: 7E4CACF9 000406C2
	v_cvt_pk_f32_fp8_sdwa v[40:41], v194 src0_sel:WORD_1       // 000000004C3C: 7E50ACF9 000506C2
	v_perm_b32 v132, v39, v38, s52                             // 000000004C44: D1ED0084 00D24D27
	v_perm_b32 v133, v41, v40, s52                             // 000000004C4C: D1ED0085 00D25129
	v_cvt_pk_f32_fp8_sdwa v[38:39], v195 src0_sel:WORD_0       // 000000004C54: 7E4CACF9 000406C3
	v_cvt_pk_f32_fp8_sdwa v[40:41], v195 src0_sel:WORD_1       // 000000004C5C: 7E50ACF9 000506C3
	v_perm_b32 v134, v39, v38, s52                             // 000000004C64: D1ED0086 00D24D27
	v_perm_b32 v135, v41, v40, s52                             // 000000004C6C: D1ED0087 00D25129
	v_cvt_pk_f32_fp8_sdwa v[38:39], v196 src0_sel:WORD_0       // 000000004C74: 7E4CACF9 000406C4
	v_cvt_pk_f32_fp8_sdwa v[40:41], v196 src0_sel:WORD_1       // 000000004C7C: 7E50ACF9 000506C4
	v_perm_b32 v136, v39, v38, s52                             // 000000004C84: D1ED0088 00D24D27
	v_perm_b32 v137, v41, v40, s52                             // 000000004C8C: D1ED0089 00D25129
	v_cvt_pk_f32_fp8_sdwa v[38:39], v197 src0_sel:WORD_0       // 000000004C94: 7E4CACF9 000406C5
	v_cvt_pk_f32_fp8_sdwa v[40:41], v197 src0_sel:WORD_1       // 000000004C9C: 7E50ACF9 000506C5
	v_perm_b32 v138, v39, v38, s52                             // 000000004CA4: D1ED008A 00D24D27
	v_perm_b32 v139, v41, v40, s52                             // 000000004CAC: D1ED008B 00D25129
	v_cvt_pk_f32_fp8_sdwa v[38:39], v198 src0_sel:WORD_0       // 000000004CB4: 7E4CACF9 000406C6
	v_cvt_pk_f32_fp8_sdwa v[40:41], v198 src0_sel:WORD_1       // 000000004CBC: 7E50ACF9 000506C6
	v_perm_b32 v140, v39, v38, s52                             // 000000004CC4: D1ED008C 00D24D27
	v_perm_b32 v141, v41, v40, s52                             // 000000004CCC: D1ED008D 00D25129
	v_cvt_pk_f32_fp8_sdwa v[38:39], v199 src0_sel:WORD_0       // 000000004CD4: 7E4CACF9 000406C7
	v_cvt_pk_f32_fp8_sdwa v[40:41], v199 src0_sel:WORD_1       // 000000004CDC: 7E50ACF9 000506C7
	v_perm_b32 v142, v39, v38, s52                             // 000000004CE4: D1ED008E 00D24D27
	v_perm_b32 v143, v41, v40, s52                             // 000000004CEC: D1ED008F 00D25129
	v_cvt_pk_f32_fp8_sdwa v[38:39], v200 src0_sel:WORD_0       // 000000004CF4: 7E4CACF9 000406C8
	v_cvt_pk_f32_fp8_sdwa v[40:41], v200 src0_sel:WORD_1       // 000000004CFC: 7E50ACF9 000506C8
	v_perm_b32 v144, v39, v38, s52                             // 000000004D04: D1ED0090 00D24D27
	v_perm_b32 v145, v41, v40, s52                             // 000000004D0C: D1ED0091 00D25129
	v_cvt_pk_f32_fp8_sdwa v[38:39], v201 src0_sel:WORD_0       // 000000004D14: 7E4CACF9 000406C9
	v_cvt_pk_f32_fp8_sdwa v[40:41], v201 src0_sel:WORD_1       // 000000004D1C: 7E50ACF9 000506C9
	v_perm_b32 v146, v39, v38, s52                             // 000000004D24: D1ED0092 00D24D27
	v_perm_b32 v147, v41, v40, s52                             // 000000004D2C: D1ED0093 00D25129
	v_cvt_pk_f32_fp8_sdwa v[38:39], v202 src0_sel:WORD_0       // 000000004D34: 7E4CACF9 000406CA
	v_cvt_pk_f32_fp8_sdwa v[40:41], v202 src0_sel:WORD_1       // 000000004D3C: 7E50ACF9 000506CA
	v_perm_b32 v148, v39, v38, s52                             // 000000004D44: D1ED0094 00D24D27
	v_perm_b32 v149, v41, v40, s52                             // 000000004D4C: D1ED0095 00D25129
	v_cvt_pk_f32_fp8_sdwa v[38:39], v203 src0_sel:WORD_0       // 000000004D54: 7E4CACF9 000406CB
	v_cvt_pk_f32_fp8_sdwa v[40:41], v203 src0_sel:WORD_1       // 000000004D5C: 7E50ACF9 000506CB
	v_perm_b32 v150, v39, v38, s52                             // 000000004D64: D1ED0096 00D24D27
	v_perm_b32 v151, v41, v40, s52                             // 000000004D6C: D1ED0097 00D25129
	v_cvt_pk_f32_fp8_sdwa v[38:39], v204 src0_sel:WORD_0       // 000000004D74: 7E4CACF9 000406CC
	v_cvt_pk_f32_fp8_sdwa v[40:41], v204 src0_sel:WORD_1       // 000000004D7C: 7E50ACF9 000506CC
	v_perm_b32 v152, v39, v38, s52                             // 000000004D84: D1ED0098 00D24D27
	v_perm_b32 v153, v41, v40, s52                             // 000000004D8C: D1ED0099 00D25129
	v_cvt_pk_f32_fp8_sdwa v[38:39], v205 src0_sel:WORD_0       // 000000004D94: 7E4CACF9 000406CD
	v_cvt_pk_f32_fp8_sdwa v[40:41], v205 src0_sel:WORD_1       // 000000004D9C: 7E50ACF9 000506CD
	v_perm_b32 v154, v39, v38, s52                             // 000000004DA4: D1ED009A 00D24D27
	v_perm_b32 v155, v41, v40, s52                             // 000000004DAC: D1ED009B 00D25129
	v_cvt_pk_f32_fp8_sdwa v[38:39], v206 src0_sel:WORD_0       // 000000004DB4: 7E4CACF9 000406CE
	v_cvt_pk_f32_fp8_sdwa v[40:41], v206 src0_sel:WORD_1       // 000000004DBC: 7E50ACF9 000506CE
	v_perm_b32 v156, v39, v38, s52                             // 000000004DC4: D1ED009C 00D24D27
	v_perm_b32 v157, v41, v40, s52                             // 000000004DCC: D1ED009D 00D25129
	v_cvt_pk_f32_fp8_sdwa v[38:39], v207 src0_sel:WORD_0       // 000000004DD4: 7E4CACF9 000406CF
	v_cvt_pk_f32_fp8_sdwa v[40:41], v207 src0_sel:WORD_1       // 000000004DDC: 7E50ACF9 000506CF
	v_perm_b32 v158, v39, v38, s52                             // 000000004DE4: D1ED009E 00D24D27
	v_perm_b32 v159, v41, v40, s52                             // 000000004DEC: D1ED009F 00D25129
	s_waitcnt lgkmcnt(0)                                       // 000000004DF4: BF8CC07F
	s_barrier                                                  // 000000004DF8: BF8A0000
	ds_read_b64 v[88:89], v12 offset:6272                      // 000000004DFC: D8EC1880 5800000C
	ds_read_b64 v[90:91], v12 offset:6400                      // 000000004E04: D8EC1900 5A00000C
	ds_read_b64 v[92:93], v12 offset:6528                      // 000000004E0C: D8EC1980 5C00000C
	ds_read_b64 v[94:95], v12 offset:6656                      // 000000004E14: D8EC1A00 5E00000C
	ds_read_b64 v[96:97], v12 offset:8320                      // 000000004E1C: D8EC2080 6000000C
	ds_read_b64 v[98:99], v12 offset:8448                      // 000000004E24: D8EC2100 6200000C
	ds_read_b64 v[100:101], v12 offset:8576                    // 000000004E2C: D8EC2180 6400000C
	ds_read_b64 v[102:103], v12 offset:8704                    // 000000004E34: D8EC2200 6600000C
	s_waitcnt vmcnt(0)                                         // 000000004E3C: BF8C0F70
	v_cvt_pk_f32_fp8_sdwa v[38:39], v208 src0_sel:WORD_0       // 000000004E40: 7E4CACF9 000406D0
	v_cvt_pk_f32_fp8_sdwa v[40:41], v208 src0_sel:WORD_1       // 000000004E48: 7E50ACF9 000506D0
	v_perm_b32 v192, v39, v38, s52                             // 000000004E50: D1ED00C0 00D24D27
	v_perm_b32 v193, v41, v40, s52                             // 000000004E58: D1ED00C1 00D25129
	v_cvt_pk_f32_fp8_sdwa v[38:39], v209 src0_sel:WORD_0       // 000000004E60: 7E4CACF9 000406D1
	v_cvt_pk_f32_fp8_sdwa v[40:41], v209 src0_sel:WORD_1       // 000000004E68: 7E50ACF9 000506D1
	v_perm_b32 v194, v39, v38, s52                             // 000000004E70: D1ED00C2 00D24D27
	v_perm_b32 v195, v41, v40, s52                             // 000000004E78: D1ED00C3 00D25129
	v_cvt_pk_f32_fp8_sdwa v[38:39], v210 src0_sel:WORD_0       // 000000004E80: 7E4CACF9 000406D2
	v_cvt_pk_f32_fp8_sdwa v[40:41], v210 src0_sel:WORD_1       // 000000004E88: 7E50ACF9 000506D2
	v_perm_b32 v196, v39, v38, s52                             // 000000004E90: D1ED00C4 00D24D27
	v_perm_b32 v197, v41, v40, s52                             // 000000004E98: D1ED00C5 00D25129
	v_cvt_pk_f32_fp8_sdwa v[38:39], v211 src0_sel:WORD_0       // 000000004EA0: 7E4CACF9 000406D3
	v_cvt_pk_f32_fp8_sdwa v[40:41], v211 src0_sel:WORD_1       // 000000004EA8: 7E50ACF9 000506D3
	v_perm_b32 v198, v39, v38, s52                             // 000000004EB0: D1ED00C6 00D24D27
	v_perm_b32 v199, v41, v40, s52                             // 000000004EB8: D1ED00C7 00D25129
	v_cvt_pk_f32_fp8_sdwa v[38:39], v212 src0_sel:WORD_0       // 000000004EC0: 7E4CACF9 000406D4
	v_cvt_pk_f32_fp8_sdwa v[40:41], v212 src0_sel:WORD_1       // 000000004EC8: 7E50ACF9 000506D4
	v_perm_b32 v200, v39, v38, s52                             // 000000004ED0: D1ED00C8 00D24D27
	v_perm_b32 v201, v41, v40, s52                             // 000000004ED8: D1ED00C9 00D25129
	v_cvt_pk_f32_fp8_sdwa v[38:39], v213 src0_sel:WORD_0       // 000000004EE0: 7E4CACF9 000406D5
	v_cvt_pk_f32_fp8_sdwa v[40:41], v213 src0_sel:WORD_1       // 000000004EE8: 7E50ACF9 000506D5
	v_perm_b32 v202, v39, v38, s52                             // 000000004EF0: D1ED00CA 00D24D27
	v_perm_b32 v203, v41, v40, s52                             // 000000004EF8: D1ED00CB 00D25129
	v_cvt_pk_f32_fp8_sdwa v[38:39], v214 src0_sel:WORD_0       // 000000004F00: 7E4CACF9 000406D6
	v_cvt_pk_f32_fp8_sdwa v[40:41], v214 src0_sel:WORD_1       // 000000004F08: 7E50ACF9 000506D6
	v_perm_b32 v204, v39, v38, s52                             // 000000004F10: D1ED00CC 00D24D27
	v_perm_b32 v205, v41, v40, s52                             // 000000004F18: D1ED00CD 00D25129
	v_cvt_pk_f32_fp8_sdwa v[38:39], v215 src0_sel:WORD_0       // 000000004F20: 7E4CACF9 000406D7
	v_cvt_pk_f32_fp8_sdwa v[40:41], v215 src0_sel:WORD_1       // 000000004F28: 7E50ACF9 000506D7
	v_perm_b32 v206, v39, v38, s52                             // 000000004F30: D1ED00CE 00D24D27
	v_perm_b32 v207, v41, v40, s52                             // 000000004F38: D1ED00CF 00D25129
	v_cvt_pk_f32_fp8_sdwa v[38:39], v216 src0_sel:WORD_0       // 000000004F40: 7E4CACF9 000406D8
	v_cvt_pk_f32_fp8_sdwa v[40:41], v216 src0_sel:WORD_1       // 000000004F48: 7E50ACF9 000506D8
	v_perm_b32 v208, v39, v38, s52                             // 000000004F50: D1ED00D0 00D24D27
	v_perm_b32 v209, v41, v40, s52                             // 000000004F58: D1ED00D1 00D25129
	v_cvt_pk_f32_fp8_sdwa v[38:39], v217 src0_sel:WORD_0       // 000000004F60: 7E4CACF9 000406D9
	v_cvt_pk_f32_fp8_sdwa v[40:41], v217 src0_sel:WORD_1       // 000000004F68: 7E50ACF9 000506D9
	v_perm_b32 v210, v39, v38, s52                             // 000000004F70: D1ED00D2 00D24D27
	v_perm_b32 v211, v41, v40, s52                             // 000000004F78: D1ED00D3 00D25129
	v_cvt_pk_f32_fp8_sdwa v[38:39], v218 src0_sel:WORD_0       // 000000004F80: 7E4CACF9 000406DA
	v_cvt_pk_f32_fp8_sdwa v[40:41], v218 src0_sel:WORD_1       // 000000004F88: 7E50ACF9 000506DA
	v_perm_b32 v212, v39, v38, s52                             // 000000004F90: D1ED00D4 00D24D27
	v_perm_b32 v213, v41, v40, s52                             // 000000004F98: D1ED00D5 00D25129
	v_cvt_pk_f32_fp8_sdwa v[38:39], v219 src0_sel:WORD_0       // 000000004FA0: 7E4CACF9 000406DB
	v_cvt_pk_f32_fp8_sdwa v[40:41], v219 src0_sel:WORD_1       // 000000004FA8: 7E50ACF9 000506DB
	v_perm_b32 v214, v39, v38, s52                             // 000000004FB0: D1ED00D6 00D24D27
	v_perm_b32 v215, v41, v40, s52                             // 000000004FB8: D1ED00D7 00D25129
	v_cvt_pk_f32_fp8_sdwa v[38:39], v220 src0_sel:WORD_0       // 000000004FC0: 7E4CACF9 000406DC
	v_cvt_pk_f32_fp8_sdwa v[40:41], v220 src0_sel:WORD_1       // 000000004FC8: 7E50ACF9 000506DC
	v_perm_b32 v216, v39, v38, s52                             // 000000004FD0: D1ED00D8 00D24D27
	v_perm_b32 v217, v41, v40, s52                             // 000000004FD8: D1ED00D9 00D25129
	v_cvt_pk_f32_fp8_sdwa v[38:39], v221 src0_sel:WORD_0       // 000000004FE0: 7E4CACF9 000406DD
	v_cvt_pk_f32_fp8_sdwa v[40:41], v221 src0_sel:WORD_1       // 000000004FE8: 7E50ACF9 000506DD
	v_perm_b32 v218, v39, v38, s52                             // 000000004FF0: D1ED00DA 00D24D27
	v_perm_b32 v219, v41, v40, s52                             // 000000004FF8: D1ED00DB 00D25129
	v_cvt_pk_f32_fp8_sdwa v[38:39], v222 src0_sel:WORD_0       // 000000005000: 7E4CACF9 000406DE
	v_cvt_pk_f32_fp8_sdwa v[40:41], v222 src0_sel:WORD_1       // 000000005008: 7E50ACF9 000506DE
	v_perm_b32 v220, v39, v38, s52                             // 000000005010: D1ED00DC 00D24D27
	v_perm_b32 v221, v41, v40, s52                             // 000000005018: D1ED00DD 00D25129
	v_cvt_pk_f32_fp8_sdwa v[38:39], v223 src0_sel:WORD_0       // 000000005020: 7E4CACF9 000406DF
	v_cvt_pk_f32_fp8_sdwa v[40:41], v223 src0_sel:WORD_1       // 000000005028: 7E50ACF9 000506DF
	v_perm_b32 v222, v39, v38, s52                             // 000000005030: D1ED00DE 00D24D27
	v_perm_b32 v223, v41, v40, s52                             // 000000005038: D1ED00DF 00D25129
	v_add_f32_e32 v112, v112, v104                             // 000000005040: 02E0D170
	v_add_f32_e32 v113, v113, v105                             // 000000005044: 02E2D371
	v_add_f32_e32 v114, v114, v106                             // 000000005048: 02E4D572
	v_add_f32_e32 v115, v115, v107                             // 00000000504C: 02E6D773
	s_waitcnt lgkmcnt(7)                                       // 000000005050: BF8CC77F
	v_mov_b32_dpp v64, v88 row_shl:8 row_mask:0xf bank_mask:0xf bound_ctrl:1// 000000005054: 7E8002FA FF090858
	v_and_b32_e32 v88, v88, v9                                 // 00000000505C: 26B01358
	v_mov_b32_dpp v65, v89 row_shl:8 row_mask:0xf bank_mask:0xf bound_ctrl:1// 000000005060: 7E8202FA FF090859
	v_and_b32_e32 v89, v89, v9                                 // 000000005068: 26B21359
	s_waitcnt lgkmcnt(6)                                       // 00000000506C: BF8CC67F
	v_mov_b32_dpp v66, v90 row_shl:8 row_mask:0xf bank_mask:0xf bound_ctrl:1// 000000005070: 7E8402FA FF09085A
	v_and_b32_e32 v90, v90, v9                                 // 000000005078: 26B4135A
	v_mov_b32_dpp v67, v91 row_shl:8 row_mask:0xf bank_mask:0xf bound_ctrl:1// 00000000507C: 7E8602FA FF09085B
	v_and_b32_e32 v91, v91, v9                                 // 000000005084: 26B6135B
	s_waitcnt lgkmcnt(5)                                       // 000000005088: BF8CC57F
	v_mov_b32_dpp v68, v92 row_shl:8 row_mask:0xf bank_mask:0xf bound_ctrl:1// 00000000508C: 7E8802FA FF09085C
	v_and_b32_e32 v92, v92, v9                                 // 000000005094: 26B8135C
	v_mov_b32_dpp v69, v93 row_shl:8 row_mask:0xf bank_mask:0xf bound_ctrl:1// 000000005098: 7E8A02FA FF09085D
	v_and_b32_e32 v93, v93, v9                                 // 0000000050A0: 26BA135D
	s_waitcnt lgkmcnt(4)                                       // 0000000050A4: BF8CC47F
	v_mov_b32_dpp v70, v94 row_shl:8 row_mask:0xf bank_mask:0xf bound_ctrl:1// 0000000050A8: 7E8C02FA FF09085E
	v_and_b32_e32 v94, v94, v9                                 // 0000000050B0: 26BC135E
	v_mov_b32_dpp v71, v95 row_shl:8 row_mask:0xf bank_mask:0xf bound_ctrl:1// 0000000050B4: 7E8E02FA FF09085F
	v_and_b32_e32 v95, v95, v9                                 // 0000000050BC: 26BE135F
	s_waitcnt lgkmcnt(3)                                       // 0000000050C0: BF8CC37F
	v_mov_b32_dpp v72, v96 row_shl:8 row_mask:0xf bank_mask:0xf bound_ctrl:1// 0000000050C4: 7E9002FA FF090860
	v_and_b32_e32 v96, v96, v9                                 // 0000000050CC: 26C01360
	v_mov_b32_dpp v73, v97 row_shl:8 row_mask:0xf bank_mask:0xf bound_ctrl:1// 0000000050D0: 7E9202FA FF090861
	v_and_b32_e32 v97, v97, v9                                 // 0000000050D8: 26C21361
	s_waitcnt lgkmcnt(2)                                       // 0000000050DC: BF8CC27F
	v_mov_b32_dpp v74, v98 row_shl:8 row_mask:0xf bank_mask:0xf bound_ctrl:1// 0000000050E0: 7E9402FA FF090862
	v_and_b32_e32 v98, v98, v9                                 // 0000000050E8: 26C41362
	v_mov_b32_dpp v75, v99 row_shl:8 row_mask:0xf bank_mask:0xf bound_ctrl:1// 0000000050EC: 7E9602FA FF090863
	v_and_b32_e32 v99, v99, v9                                 // 0000000050F4: 26C61363
	s_waitcnt lgkmcnt(1)                                       // 0000000050F8: BF8CC17F
	v_mov_b32_dpp v76, v100 row_shl:8 row_mask:0xf bank_mask:0xf bound_ctrl:1// 0000000050FC: 7E9802FA FF090864
	v_and_b32_e32 v100, v100, v9                               // 000000005104: 26C81364
	v_mov_b32_dpp v77, v101 row_shl:8 row_mask:0xf bank_mask:0xf bound_ctrl:1// 000000005108: 7E9A02FA FF090865
	v_and_b32_e32 v101, v101, v9                               // 000000005110: 26CA1365
	s_waitcnt lgkmcnt(0)                                       // 000000005114: BF8CC07F
	v_mov_b32_dpp v78, v102 row_shl:8 row_mask:0xf bank_mask:0xf bound_ctrl:1// 000000005118: 7E9C02FA FF090866
	v_and_b32_e32 v102, v102, v9                               // 000000005120: 26CC1366
	v_mov_b32_dpp v79, v103 row_shl:8 row_mask:0xf bank_mask:0xf bound_ctrl:1// 000000005124: 7E9E02FA FF090867
	v_and_b32_e32 v103, v103, v9                               // 00000000512C: 26CE1367
	s_waitcnt vmcnt(0)                                         // 000000005130: BF8C0F70
	s_barrier                                                  // 000000005134: BF8A0000
	v_mfma_f32_16x16x16_bf16 v[104:107], v[128:129], v[88:89], 0// 000000005138: D3E10068 0202B180
	v_mfma_f32_16x16x16_bf16 v[104:107], v[130:131], v[90:91], v[104:107]// 000000005140: D3E10068 05A2B582
	v_mfma_f32_16x16x16_bf16 v[104:107], v[132:133], v[92:93], v[104:107]// 000000005148: D3E10068 05A2B984
	v_mfma_f32_16x16x16_bf16 v[104:107], v[134:135], v[94:95], v[104:107]// 000000005150: D3E10068 05A2BD86
	v_mfma_f32_16x16x16_bf16 v[104:107], v[136:137], v[96:97], v[104:107]// 000000005158: D3E10068 05A2C188
	v_mfma_f32_16x16x16_bf16 v[104:107], v[138:139], v[98:99], v[104:107]// 000000005160: D3E10068 05A2C58A
	v_mfma_f32_16x16x16_bf16 v[104:107], v[140:141], v[100:101], v[104:107]// 000000005168: D3E10068 05A2C98C
	v_mfma_f32_16x16x16_bf16 v[104:107], v[142:143], v[102:103], v[104:107]// 000000005170: D3E10068 05A2CD8E
	v_mfma_f32_16x16x16_bf16 v[104:107], v[144:145], v[64:65], v[104:107]// 000000005178: D3E10068 05A28190
	v_mfma_f32_16x16x16_bf16 v[104:107], v[146:147], v[66:67], v[104:107]// 000000005180: D3E10068 05A28592
	v_mfma_f32_16x16x16_bf16 v[104:107], v[148:149], v[68:69], v[104:107]// 000000005188: D3E10068 05A28994
	v_mfma_f32_16x16x16_bf16 v[104:107], v[150:151], v[70:71], v[104:107]// 000000005190: D3E10068 05A28D96
	v_mfma_f32_16x16x16_bf16 v[104:107], v[152:153], v[72:73], v[104:107]// 000000005198: D3E10068 05A29198
	v_mfma_f32_16x16x16_bf16 v[104:107], v[154:155], v[74:75], v[104:107]// 0000000051A0: D3E10068 05A2959A
	v_mfma_f32_16x16x16_bf16 v[104:107], v[156:157], v[76:77], v[104:107]// 0000000051A8: D3E10068 05A2999C
	v_mfma_f32_16x16x16_bf16 v[104:107], v[158:159], v[78:79], v[104:107]// 0000000051B0: D3E10068 05A29D9E
	v_mfma_f32_16x16x16_bf16 v[108:111], v[192:193], v[88:89], 0// 0000000051B8: D3E1006C 0202B1C0
	v_mfma_f32_16x16x16_bf16 v[108:111], v[194:195], v[90:91], v[108:111]// 0000000051C0: D3E1006C 05B2B5C2
	v_mfma_f32_16x16x16_bf16 v[108:111], v[196:197], v[92:93], v[108:111]// 0000000051C8: D3E1006C 05B2B9C4
	v_mfma_f32_16x16x16_bf16 v[108:111], v[198:199], v[94:95], v[108:111]// 0000000051D0: D3E1006C 05B2BDC6
	v_mfma_f32_16x16x16_bf16 v[108:111], v[200:201], v[96:97], v[108:111]// 0000000051D8: D3E1006C 05B2C1C8
	v_mfma_f32_16x16x16_bf16 v[108:111], v[202:203], v[98:99], v[108:111]// 0000000051E0: D3E1006C 05B2C5CA
	v_mfma_f32_16x16x16_bf16 v[108:111], v[204:205], v[100:101], v[108:111]// 0000000051E8: D3E1006C 05B2C9CC
	v_mfma_f32_16x16x16_bf16 v[108:111], v[206:207], v[102:103], v[108:111]// 0000000051F0: D3E1006C 05B2CDCE
	v_mfma_f32_16x16x16_bf16 v[108:111], v[208:209], v[64:65], v[108:111]// 0000000051F8: D3E1006C 05B281D0
	v_mfma_f32_16x16x16_bf16 v[108:111], v[210:211], v[66:67], v[108:111]// 000000005200: D3E1006C 05B285D2
	v_mfma_f32_16x16x16_bf16 v[108:111], v[212:213], v[68:69], v[108:111]// 000000005208: D3E1006C 05B289D4
	v_mfma_f32_16x16x16_bf16 v[108:111], v[214:215], v[70:71], v[108:111]// 000000005210: D3E1006C 05B28DD6
	v_mfma_f32_16x16x16_bf16 v[108:111], v[216:217], v[72:73], v[108:111]// 000000005218: D3E1006C 05B291D8
	v_mfma_f32_16x16x16_bf16 v[108:111], v[218:219], v[74:75], v[108:111]// 000000005220: D3E1006C 05B295DA
	v_mfma_f32_16x16x16_bf16 v[108:111], v[220:221], v[76:77], v[108:111]// 000000005228: D3E1006C 05B299DC
	v_mfma_f32_16x16x16_bf16 v[108:111], v[222:223], v[78:79], v[108:111]// 000000005230: D3E1006C 05B29DDE
	s_nop 4                                                    // 000000005238: BF800004
	s_branch label_0F28                                        // 00000000523C: BF8202D8

0000000000005240 <label_0C50>:
	s_waitcnt vmcnt(8) lgkmcnt(0)                              // 000000005240: BF8C0078
	s_barrier                                                  // 000000005244: BF8A0000
	v_mfma_f32_16x16x32_fp8_fp8 v[88:91], v[160:161], v[80:81], 0// 000000005248: D3F30058 0202A1A0
	v_mfma_f32_16x16x32_fp8_fp8 v[88:91], v[162:163], v[82:83], v[88:91]// 000000005250: D3F30058 0562A5A2
	v_mfma_f32_16x16x32_fp8_fp8 v[88:91], v[164:165], v[84:85], v[88:91]// 000000005258: D3F30058 0562A9A4
	v_mfma_f32_16x16x32_fp8_fp8 v[88:91], v[166:167], v[86:87], v[88:91]// 000000005260: D3F30058 0562ADA6
	v_mfma_f32_16x16x32_fp8_fp8 v[92:95], v[168:169], v[80:81], 0// 000000005268: D3F3005C 0202A1A8
	v_mfma_f32_16x16x32_fp8_fp8 v[92:95], v[170:171], v[82:83], v[92:95]// 000000005270: D3F3005C 0572A5AA
	v_mfma_f32_16x16x32_fp8_fp8 v[92:95], v[172:173], v[84:85], v[92:95]// 000000005278: D3F3005C 0572A9AC
	v_mfma_f32_16x16x32_fp8_fp8 v[92:95], v[174:175], v[86:87], v[92:95]// 000000005280: D3F3005C 0572ADAE
	v_mfma_f32_16x16x32_fp8_fp8 v[96:99], v[176:177], v[80:81], 0// 000000005288: D3F30060 0202A1B0
	v_mfma_f32_16x16x32_fp8_fp8 v[96:99], v[178:179], v[82:83], v[96:99]// 000000005290: D3F30060 0582A5B2
	v_mfma_f32_16x16x32_fp8_fp8 v[96:99], v[180:181], v[84:85], v[96:99]// 000000005298: D3F30060 0582A9B4
	v_mfma_f32_16x16x32_fp8_fp8 v[96:99], v[182:183], v[86:87], v[96:99]// 0000000052A0: D3F30060 0582ADB6
	v_mfma_f32_16x16x32_fp8_fp8 v[100:103], v[184:185], v[80:81], 0// 0000000052A8: D3F30064 0202A1B8
	v_mfma_f32_16x16x32_fp8_fp8 v[100:103], v[186:187], v[82:83], v[100:103]// 0000000052B0: D3F30064 0592A5BA
	v_mfma_f32_16x16x32_fp8_fp8 v[100:103], v[188:189], v[84:85], v[100:103]// 0000000052B8: D3F30064 0592A9BC
	v_mfma_f32_16x16x32_fp8_fp8 v[100:103], v[190:191], v[86:87], v[100:103]// 0000000052C0: D3F30064 0592ADBE
	v_mov_b32_dpp v38, v45 row_shr:4 row_mask:0xf bank_mask:0xf// 0000000052C8: 7E4C02FA FF01142D
	v_mov_b32_dpp v39, v45 row_shl:4 row_mask:0xf bank_mask:0xf// 0000000052D0: 7E4E02FA FF01042D
	v_cndmask_b32_e64 v124, v45, v38, s[44:45]                 // 0000000052D8: D100007C 00B24D2D
	v_cndmask_b32_e64 v125, v39, v45, s[44:45]                 // 0000000052E0: D100007D 00B25B27
	v_mov_b32_dpp v38, v56 row_shr:4 row_mask:0xf bank_mask:0xf// 0000000052E8: 7E4C02FA FF011438
	v_mov_b32_dpp v39, v56 row_shl:4 row_mask:0xf bank_mask:0xf// 0000000052F0: 7E4E02FA FF010438
	v_cndmask_b32_e64 v126, v56, v38, s[44:45]                 // 0000000052F8: D100007E 00B24D38
	v_cndmask_b32_e64 v127, v39, v56, s[44:45]                 // 000000005300: D100007F 00B27127
	v_or_b32_dpp v88, v96, v88 row_shr:8 row_mask:0xf bank_mask:0xf bound_ctrl:1// 000000005308: 28B0B0FA FF091860
	v_or_b32_dpp v89, v97, v89 row_shr:8 row_mask:0xf bank_mask:0xf bound_ctrl:1// 000000005310: 28B2B2FA FF091861
	v_or_b32_dpp v90, v98, v90 row_shr:8 row_mask:0xf bank_mask:0xf bound_ctrl:1// 000000005318: 28B4B4FA FF091862
	v_or_b32_dpp v91, v99, v91 row_shr:8 row_mask:0xf bank_mask:0xf bound_ctrl:1// 000000005320: 28B6B6FA FF091863
	v_or_b32_dpp v92, v100, v92 row_shr:8 row_mask:0xf bank_mask:0xf bound_ctrl:1// 000000005328: 28B8B8FA FF091864
	v_or_b32_dpp v93, v101, v93 row_shr:8 row_mask:0xf bank_mask:0xf bound_ctrl:1// 000000005330: 28BABAFA FF091865
	v_or_b32_dpp v94, v102, v94 row_shr:8 row_mask:0xf bank_mask:0xf bound_ctrl:1// 000000005338: 28BCBCFA FF091866
	v_or_b32_dpp v95, v103, v95 row_shr:8 row_mask:0xf bank_mask:0xf bound_ctrl:1// 000000005340: 28BEBEFA FF091867
	v_mul_f32_e32 v88, v46, v88                                // 000000005348: 0AB0B12E
	v_mul_f32_e32 v89, v46, v89                                // 00000000534C: 0AB2B32E
	v_mul_f32_e32 v90, v46, v90                                // 000000005350: 0AB4B52E
	v_mul_f32_e32 v91, v46, v91                                // 000000005354: 0AB6B72E
	v_mul_f32_e32 v92, v46, v92                                // 000000005358: 0AB8B92E
	v_mul_f32_e32 v93, v46, v93                                // 00000000535C: 0ABABB2E
	v_mul_f32_e32 v94, v46, v94                                // 000000005360: 0ABCBD2E
	v_mul_f32_e32 v95, v46, v95                                // 000000005364: 0ABEBF2E
	v_mul_f32_dpp v88, v124, v88 quad_perm:[0,0,0,0] row_mask:0xf bank_mask:0xf// 000000005368: 0AB0B0FA FF00007C
	v_mul_f32_dpp v89, v124, v89 quad_perm:[1,1,1,1] row_mask:0xf bank_mask:0xf// 000000005370: 0AB2B2FA FF00557C
	v_mul_f32_dpp v90, v124, v90 quad_perm:[2,2,2,2] row_mask:0xf bank_mask:0xf// 000000005378: 0AB4B4FA FF00AA7C
	v_mul_f32_dpp v91, v124, v91 quad_perm:[3,3,3,3] row_mask:0xf bank_mask:0xf// 000000005380: 0AB6B6FA FF00FF7C
	v_mul_f32_dpp v92, v125, v92 quad_perm:[0,0,0,0] row_mask:0xf bank_mask:0xf// 000000005388: 0AB8B8FA FF00007D
	v_mul_f32_dpp v93, v125, v93 quad_perm:[1,1,1,1] row_mask:0xf bank_mask:0xf// 000000005390: 0ABABAFA FF00557D
	v_mul_f32_dpp v94, v125, v94 quad_perm:[2,2,2,2] row_mask:0xf bank_mask:0xf// 000000005398: 0ABCBCFA FF00AA7D
	v_mul_f32_dpp v95, v125, v95 quad_perm:[3,3,3,3] row_mask:0xf bank_mask:0xf// 0000000053A0: 0ABEBEFA FF00FF7D
	s_and_b32 s60, s72, 0xff                                   // 0000000053A8: 863CFF48 000000FF
	v_mov_b32_e32 v62, s60                                     // 0000000053B0: 7E7C023C
	v_lshrrev_b32_e32 v116, 4, v0                              // 0000000053B4: 20E80084
	v_mul_i32_i24_e32 v116, 4, v116                            // 0000000053B8: 0CE8E884
	v_and_b32_e32 v38, 15, v0                                  // 0000000053BC: 264C008F
	v_lshrrev_b32_e32 v38, 3, v38                              // 0000000053C0: 204C4C83
	v_mul_i32_i24_e32 v38, 0x80, v38                           // 0000000053C4: 0C4C4CFF 00000080
	v_add_u32_e32 v116, v38, v116                              // 0000000053CC: 68E8E926
	s_mul_i32 s60, s7, 16                                      // 0000000053D0: 923C9007
	v_add_u32_e32 v116, s60, v116                              // 0000000053D4: 68E8E83C
	v_add_u32_e32 v117, 1, v116                                // 0000000053D8: 68EAE881
	v_add_u32_e32 v118, 2, v116                                // 0000000053DC: 68ECE882
	v_add_u32_e32 v119, 3, v116                                // 0000000053E0: 68EEE883
	v_cmp_lt_u32_e64 s[40:41], v116, v62                       // 0000000053E4: D0C90028 00027D74
	v_add_u32_e32 v116, 64, v116                               // 0000000053EC: 68E8E8C0
	s_nop 0                                                    // 0000000053F0: BF800000
	v_cndmask_b32_e64 v88, v52, v88, s[40:41]                  // 0000000053F4: D1000058 00A2B134
	v_cmp_lt_u32_e64 s[40:41], v117, v62                       // 0000000053FC: D0C90028 00027D75
	v_add_u32_e32 v117, 64, v117                               // 000000005404: 68EAEAC0
	s_nop 0                                                    // 000000005408: BF800000
	v_cndmask_b32_e64 v89, v52, v89, s[40:41]                  // 00000000540C: D1000059 00A2B334
	v_cmp_lt_u32_e64 s[40:41], v118, v62                       // 000000005414: D0C90028 00027D76
	v_add_u32_e32 v118, 64, v118                               // 00000000541C: 68ECECC0
	s_nop 0                                                    // 000000005420: BF800000
	v_cndmask_b32_e64 v90, v52, v90, s[40:41]                  // 000000005424: D100005A 00A2B534
	v_cmp_lt_u32_e64 s[40:41], v119, v62                       // 00000000542C: D0C90028 00027D77
	v_add_u32_e32 v119, 64, v119                               // 000000005434: 68EEEEC0
	s_nop 0                                                    // 000000005438: BF800000
	v_cndmask_b32_e64 v91, v52, v91, s[40:41]                  // 00000000543C: D100005B 00A2B734
	v_cmp_lt_u32_e64 s[40:41], v116, v62                       // 000000005444: D0C90028 00027D74
	v_add_u32_e32 v116, 64, v116                               // 00000000544C: 68E8E8C0
	s_nop 0                                                    // 000000005450: BF800000
	v_cndmask_b32_e64 v92, v52, v92, s[40:41]                  // 000000005454: D100005C 00A2B934
	v_cmp_lt_u32_e64 s[40:41], v117, v62                       // 00000000545C: D0C90028 00027D75
	v_add_u32_e32 v117, 64, v117                               // 000000005464: 68EAEAC0
	s_nop 0                                                    // 000000005468: BF800000
	v_cndmask_b32_e64 v93, v52, v93, s[40:41]                  // 00000000546C: D100005D 00A2BB34
	v_cmp_lt_u32_e64 s[40:41], v118, v62                       // 000000005474: D0C90028 00027D76
	v_add_u32_e32 v118, 64, v118                               // 00000000547C: 68ECECC0
	s_nop 0                                                    // 000000005480: BF800000
	v_cndmask_b32_e64 v94, v52, v94, s[40:41]                  // 000000005484: D100005E 00A2BD34
	v_cmp_lt_u32_e64 s[40:41], v119, v62                       // 00000000548C: D0C90028 00027D77
	v_add_u32_e32 v119, 64, v119                               // 000000005494: 68EEEEC0
	s_nop 0                                                    // 000000005498: BF800000
	v_cndmask_b32_e64 v95, v52, v95, s[40:41]                  // 00000000549C: D100005F 00A2BF34
	v_mov_b32_e32 v48, v88                                     // 0000000054A4: 7E600358
	v_max3_f32 v48, v88, v89, v48                              // 0000000054A8: D1D30030 04C2B358
	v_max3_f32 v48, v90, v91, v48                              // 0000000054B0: D1D30030 04C2B75A
	v_max3_f32 v48, v92, v93, v48                              // 0000000054B8: D1D30030 04C2BB5C
	v_max3_f32 v48, v94, v95, v48                              // 0000000054C0: D1D30030 04C2BF5E
	ds_write_b32 v11, v48 offset:4224                          // 0000000054C8: D81A1080 0000300B
	v_mul_u32_u24_dpp v38, v16, v51 row_newbcast:1 row_mask:0xf bank_mask:0xf// 0000000054D0: 104C66FA FF015110
	v_mul_u32_u24_dpp v39, v16, v51 row_newbcast:5 row_mask:0xf bank_mask:0xf// 0000000054D8: 104E66FA FF015510
	v_mul_u32_u24_dpp v40, v16, v51 row_newbcast:9 row_mask:0xf bank_mask:0xf// 0000000054E0: 105066FA FF015910
	v_mul_u32_u24_dpp v41, v16, v51 row_newbcast:13 row_mask:0xf bank_mask:0xf// 0000000054E8: 105266FA FF015D10
	v_add_u32_e32 v30, v38, v7                                 // 0000000054F0: 683C0F26
	v_add_u32_e32 v31, v39, v7                                 // 0000000054F4: 683E0F27
	v_add_u32_e32 v32, v40, v7                                 // 0000000054F8: 68400F28
	v_add_u32_e32 v33, v41, v7                                 // 0000000054FC: 68420F29
	s_waitcnt lgkmcnt(0)                                       // 000000005500: BF8CC07F
	s_barrier                                                  // 000000005504: BF8A0000
	ds_read_b32 v64, v10 offset:4224                           // 000000005508: D86C1080 4000000A
	ds_read_b32 v65, v10 offset:4288                           // 000000005510: D86C10C0 4100000A
	ds_read_b32 v66, v10 offset:4352                           // 000000005518: D86C1100 4200000A
	ds_read_b32 v67, v10 offset:4416                           // 000000005520: D86C1140 4300000A
	ds_read_b32 v68, v10 offset:4480                           // 000000005528: D86C1180 4400000A
	ds_read_b32 v69, v10 offset:4544                           // 000000005530: D86C11C0 4500000A
	ds_read_b32 v70, v10 offset:4608                           // 000000005538: D86C1200 4600000A
	ds_read_b32 v71, v10 offset:4672                           // 000000005540: D86C1240 4700000A
	ds_read_b32 v72, v10 offset:4736                           // 000000005548: D86C1280 4800000A
	ds_read_b32 v73, v10 offset:4800                           // 000000005550: D86C12C0 4900000A
	ds_read_b32 v74, v10 offset:4864                           // 000000005558: D86C1300 4A00000A
	ds_read_b32 v75, v10 offset:4928                           // 000000005560: D86C1340 4B00000A
	ds_read_b32 v76, v10 offset:4992                           // 000000005568: D86C1380 4C00000A
	ds_read_b32 v77, v10 offset:5056                           // 000000005570: D86C13C0 4D00000A
	ds_read_b32 v78, v10 offset:5120                           // 000000005578: D86C1400 4E00000A
	ds_read_b32 v79, v10 offset:5184                           // 000000005580: D86C1440 4F00000A
	v_mul_f32_e32 v112, v49, v112                              // 000000005588: 0AE0E131
	v_mul_f32_e32 v113, v49, v113                              // 00000000558C: 0AE2E331
	v_mul_f32_e32 v114, v49, v114                              // 000000005590: 0AE4E531
	v_mul_f32_e32 v115, v49, v115                              // 000000005594: 0AE6E731
	v_or_b32_dpp v104, v108, v104 row_shr:8 row_mask:0xf bank_mask:0xf bound_ctrl:1// 000000005598: 28D0D0FA FF09186C
	v_or_b32_dpp v105, v109, v105 row_shr:8 row_mask:0xf bank_mask:0xf bound_ctrl:1// 0000000055A0: 28D2D2FA FF09186D
	v_or_b32_dpp v106, v110, v106 row_shr:8 row_mask:0xf bank_mask:0xf bound_ctrl:1// 0000000055A8: 28D4D4FA FF09186E
	v_or_b32_dpp v107, v111, v107 row_shr:8 row_mask:0xf bank_mask:0xf bound_ctrl:1// 0000000055B0: 28D6D6FA FF09186F
	s_waitcnt lgkmcnt(0)                                       // 0000000055B8: BF8CC07F
	v_max3_f32 v48, v64, v65, v48                              // 0000000055BC: D1D30030 04C28340
	v_max3_f32 v48, v66, v67, v48                              // 0000000055C4: D1D30030 04C28742
	v_max3_f32 v48, v68, v69, v48                              // 0000000055CC: D1D30030 04C28B44
	v_max3_f32 v48, v70, v71, v48                              // 0000000055D4: D1D30030 04C28F46
	v_max3_f32 v48, v72, v73, v48                              // 0000000055DC: D1D30030 04C29348
	v_max3_f32 v48, v74, v75, v48                              // 0000000055E4: D1D30030 04C2974A
	v_max3_f32 v48, v76, v77, v48                              // 0000000055EC: D1D30030 04C29B4C
	v_max3_f32 v48, v78, v79, v48                              // 0000000055F4: D1D30030 04C29F4E
	v_cmp_eq_u32_e64 s[40:41], v52, v14                        // 0000000055FC: D0CA0028 00021D34
	s_nop 1                                                    // 000000005604: BF800001
	v_mov_b32_dpp v38, v48 row_ror:8 row_mask:0xf bank_mask:0xf// 000000005608: 7E4C02FA FF012830
	v_max_f32_e32 v48, v48, v38                                // 000000005610: 16604D30
	v_max_f32_e32 v15, v48, v14                                // 000000005614: 161E1D30
	v_mul_f32_e32 v50, s64, v15                                // 000000005618: 0A641E40
	v_fma_f32 v88, v88, s64, -v50                              // 00000000561C: D1CB0058 84C88158
	v_fma_f32 v89, v89, s64, -v50                              // 000000005624: D1CB0059 84C88159
	v_fma_f32 v90, v90, s64, -v50                              // 00000000562C: D1CB005A 84C8815A
	v_fma_f32 v91, v91, s64, -v50                              // 000000005634: D1CB005B 84C8815B
	v_fma_f32 v92, v92, s64, -v50                              // 00000000563C: D1CB005C 84C8815C
	v_fma_f32 v93, v93, s64, -v50                              // 000000005644: D1CB005D 84C8815D
	v_fma_f32 v94, v94, s64, -v50                              // 00000000564C: D1CB005E 84C8815E
	v_fma_f32 v95, v95, s64, -v50                              // 000000005654: D1CB005F 84C8815F
	v_exp_f32_e32 v88, v88                                     // 00000000565C: 7EB04158
	v_exp_f32_e32 v89, v89                                     // 000000005660: 7EB24159
	v_exp_f32_e32 v90, v90                                     // 000000005664: 7EB4415A
	v_exp_f32_e32 v91, v91                                     // 000000005668: 7EB6415B
	v_exp_f32_e32 v92, v92                                     // 00000000566C: 7EB8415C
	v_exp_f32_e32 v93, v93                                     // 000000005670: 7EBA415D
	v_exp_f32_e32 v94, v94                                     // 000000005674: 7EBC415E
	v_exp_f32_e32 v95, v95                                     // 000000005678: 7EBE415F
	v_mul_f32_dpp v116, v126, v88 quad_perm:[0,0,0,0] row_mask:0xf bank_mask:0xf// 00000000567C: 0AE8B0FA FF00007E
	v_mul_f32_dpp v117, v126, v89 quad_perm:[1,1,1,1] row_mask:0xf bank_mask:0xf// 000000005684: 0AEAB2FA FF00557E
	v_mul_f32_dpp v118, v126, v90 quad_perm:[2,2,2,2] row_mask:0xf bank_mask:0xf// 00000000568C: 0AECB4FA FF00AA7E
	v_mul_f32_dpp v119, v126, v91 quad_perm:[3,3,3,3] row_mask:0xf bank_mask:0xf// 000000005694: 0AEEB6FA FF00FF7E
	v_mul_f32_dpp v120, v127, v92 quad_perm:[0,0,0,0] row_mask:0xf bank_mask:0xf// 00000000569C: 0AF0B8FA FF00007F
	v_mul_f32_dpp v121, v127, v93 quad_perm:[1,1,1,1] row_mask:0xf bank_mask:0xf// 0000000056A4: 0AF2BAFA FF00557F
	v_mul_f32_dpp v122, v127, v94 quad_perm:[2,2,2,2] row_mask:0xf bank_mask:0xf// 0000000056AC: 0AF4BCFA FF00AA7F
	v_mul_f32_dpp v123, v127, v95 quad_perm:[3,3,3,3] row_mask:0xf bank_mask:0xf// 0000000056B4: 0AF6BEFA FF00FF7F
	v_sub_f32_e32 v49, v14, v15                                // 0000000056BC: 04621F0E
	v_cndmask_b32_e64 v49, v49, 0, s[40:41]                    // 0000000056C0: D1000031 00A10131
	v_mov_b32_e32 v14, v15                                     // 0000000056C8: 7E1C030F
	v_mul_f32_e32 v49, s64, v49                                // 0000000056CC: 0A626240
	v_exp_f32_e32 v49, v49                                     // 0000000056D0: 7E624131
	s_nop 2                                                    // 0000000056D4: BF800002
	v_mul_f32_e32 v42, v49, v42                                // 0000000056D8: 0A545531
	v_mov_b32_e32 v43, v88                                     // 0000000056DC: 7E560358
	v_add_f32_e32 v43, v89, v43                                // 0000000056E0: 02565759
	v_add_f32_e32 v43, v90, v43                                // 0000000056E4: 0256575A
	v_add_f32_e32 v43, v91, v43                                // 0000000056E8: 0256575B
	v_add_f32_e32 v43, v92, v43                                // 0000000056EC: 0256575C
	v_add_f32_e32 v43, v93, v43                                // 0000000056F0: 0256575D
	v_add_f32_e32 v43, v94, v43                                // 0000000056F4: 0256575E
	v_add_f32_e32 v43, v95, v43                                // 0000000056F8: 0256575F
	v_add_f32_e32 v42, v43, v42                                // 0000000056FC: 0254552B
	v_perm_b32 v88, v117, v116, s52                            // 000000005700: D1ED0058 00D2E975
	v_perm_b32 v89, v119, v118, s52                            // 000000005708: D1ED0059 00D2ED77
	v_perm_b32 v90, v121, v120, s52                            // 000000005710: D1ED005A 00D2F179
	v_perm_b32 v91, v123, v122, s52                            // 000000005718: D1ED005B 00D2F57B
	s_nop 2                                                    // 000000005720: BF800002
	v_mov_b32_dpp v38, v48 row_ror:8 row_mask:0xf bank_mask:0xf// 000000005724: 7E4C02FA FF012830
	v_max_f32_e32 v48, v48, v38                                // 00000000572C: 16604D30
	ds_write_b64 v13, v[88:89] offset:6272                     // 000000005730: D89A1880 0000580D
	ds_write_b64 v13, v[90:91] offset:8320                     // 000000005738: D89A2080 00005A0D
	v_mul_f32_e32 v104, v47, v104                              // 000000005740: 0AD0D12F
	v_mul_f32_e32 v105, v47, v105                              // 000000005744: 0AD2D32F
	v_mul_f32_e32 v106, v47, v106                              // 000000005748: 0AD4D52F
	v_mul_f32_e32 v107, v47, v107                              // 00000000574C: 0AD6D72F
	s_waitcnt vmcnt(4)                                         // 000000005750: BF8C0F74
	v_cvt_pk_f32_fp8_sdwa v[38:39], v224 src0_sel:WORD_0       // 000000005754: 7E4CACF9 000406E0
	v_cvt_pk_f32_fp8_sdwa v[40:41], v224 src0_sel:WORD_1       // 00000000575C: 7E50ACF9 000506E0
	v_perm_b32 v160, v39, v38, s52                             // 000000005764: D1ED00A0 00D24D27
	v_perm_b32 v161, v41, v40, s52                             // 00000000576C: D1ED00A1 00D25129
	v_cvt_pk_f32_fp8_sdwa v[38:39], v225 src0_sel:WORD_0       // 000000005774: 7E4CACF9 000406E1
	v_cvt_pk_f32_fp8_sdwa v[40:41], v225 src0_sel:WORD_1       // 00000000577C: 7E50ACF9 000506E1
	v_perm_b32 v162, v39, v38, s52                             // 000000005784: D1ED00A2 00D24D27
	v_perm_b32 v163, v41, v40, s52                             // 00000000578C: D1ED00A3 00D25129
	v_cvt_pk_f32_fp8_sdwa v[38:39], v226 src0_sel:WORD_0       // 000000005794: 7E4CACF9 000406E2
	v_cvt_pk_f32_fp8_sdwa v[40:41], v226 src0_sel:WORD_1       // 00000000579C: 7E50ACF9 000506E2
	v_perm_b32 v164, v39, v38, s52                             // 0000000057A4: D1ED00A4 00D24D27
	v_perm_b32 v165, v41, v40, s52                             // 0000000057AC: D1ED00A5 00D25129
	v_cvt_pk_f32_fp8_sdwa v[38:39], v227 src0_sel:WORD_0       // 0000000057B4: 7E4CACF9 000406E3
	v_cvt_pk_f32_fp8_sdwa v[40:41], v227 src0_sel:WORD_1       // 0000000057BC: 7E50ACF9 000506E3
	v_perm_b32 v166, v39, v38, s52                             // 0000000057C4: D1ED00A6 00D24D27
	v_perm_b32 v167, v41, v40, s52                             // 0000000057CC: D1ED00A7 00D25129
	v_cvt_pk_f32_fp8_sdwa v[38:39], v228 src0_sel:WORD_0       // 0000000057D4: 7E4CACF9 000406E4
	v_cvt_pk_f32_fp8_sdwa v[40:41], v228 src0_sel:WORD_1       // 0000000057DC: 7E50ACF9 000506E4
	v_perm_b32 v168, v39, v38, s52                             // 0000000057E4: D1ED00A8 00D24D27
	v_perm_b32 v169, v41, v40, s52                             // 0000000057EC: D1ED00A9 00D25129
	v_cvt_pk_f32_fp8_sdwa v[38:39], v229 src0_sel:WORD_0       // 0000000057F4: 7E4CACF9 000406E5
	v_cvt_pk_f32_fp8_sdwa v[40:41], v229 src0_sel:WORD_1       // 0000000057FC: 7E50ACF9 000506E5
	v_perm_b32 v170, v39, v38, s52                             // 000000005804: D1ED00AA 00D24D27
	v_perm_b32 v171, v41, v40, s52                             // 00000000580C: D1ED00AB 00D25129
	v_cvt_pk_f32_fp8_sdwa v[38:39], v230 src0_sel:WORD_0       // 000000005814: 7E4CACF9 000406E6
	v_cvt_pk_f32_fp8_sdwa v[40:41], v230 src0_sel:WORD_1       // 00000000581C: 7E50ACF9 000506E6
	v_perm_b32 v172, v39, v38, s52                             // 000000005824: D1ED00AC 00D24D27
	v_perm_b32 v173, v41, v40, s52                             // 00000000582C: D1ED00AD 00D25129
	v_cvt_pk_f32_fp8_sdwa v[38:39], v231 src0_sel:WORD_0       // 000000005834: 7E4CACF9 000406E7
	v_cvt_pk_f32_fp8_sdwa v[40:41], v231 src0_sel:WORD_1       // 00000000583C: 7E50ACF9 000506E7
	v_perm_b32 v174, v39, v38, s52                             // 000000005844: D1ED00AE 00D24D27
	v_perm_b32 v175, v41, v40, s52                             // 00000000584C: D1ED00AF 00D25129
	v_cvt_pk_f32_fp8_sdwa v[38:39], v232 src0_sel:WORD_0       // 000000005854: 7E4CACF9 000406E8
	v_cvt_pk_f32_fp8_sdwa v[40:41], v232 src0_sel:WORD_1       // 00000000585C: 7E50ACF9 000506E8
	v_perm_b32 v176, v39, v38, s52                             // 000000005864: D1ED00B0 00D24D27
	v_perm_b32 v177, v41, v40, s52                             // 00000000586C: D1ED00B1 00D25129
	v_cvt_pk_f32_fp8_sdwa v[38:39], v233 src0_sel:WORD_0       // 000000005874: 7E4CACF9 000406E9
	v_cvt_pk_f32_fp8_sdwa v[40:41], v233 src0_sel:WORD_1       // 00000000587C: 7E50ACF9 000506E9
	v_perm_b32 v178, v39, v38, s52                             // 000000005884: D1ED00B2 00D24D27
	v_perm_b32 v179, v41, v40, s52                             // 00000000588C: D1ED00B3 00D25129
	v_cvt_pk_f32_fp8_sdwa v[38:39], v234 src0_sel:WORD_0       // 000000005894: 7E4CACF9 000406EA
	v_cvt_pk_f32_fp8_sdwa v[40:41], v234 src0_sel:WORD_1       // 00000000589C: 7E50ACF9 000506EA
	v_perm_b32 v180, v39, v38, s52                             // 0000000058A4: D1ED00B4 00D24D27
	v_perm_b32 v181, v41, v40, s52                             // 0000000058AC: D1ED00B5 00D25129
	v_cvt_pk_f32_fp8_sdwa v[38:39], v235 src0_sel:WORD_0       // 0000000058B4: 7E4CACF9 000406EB
	v_cvt_pk_f32_fp8_sdwa v[40:41], v235 src0_sel:WORD_1       // 0000000058BC: 7E50ACF9 000506EB
	v_perm_b32 v182, v39, v38, s52                             // 0000000058C4: D1ED00B6 00D24D27
	v_perm_b32 v183, v41, v40, s52                             // 0000000058CC: D1ED00B7 00D25129
	v_cvt_pk_f32_fp8_sdwa v[38:39], v236 src0_sel:WORD_0       // 0000000058D4: 7E4CACF9 000406EC
	v_cvt_pk_f32_fp8_sdwa v[40:41], v236 src0_sel:WORD_1       // 0000000058DC: 7E50ACF9 000506EC
	v_perm_b32 v184, v39, v38, s52                             // 0000000058E4: D1ED00B8 00D24D27
	v_perm_b32 v185, v41, v40, s52                             // 0000000058EC: D1ED00B9 00D25129
	v_cvt_pk_f32_fp8_sdwa v[38:39], v237 src0_sel:WORD_0       // 0000000058F4: 7E4CACF9 000406ED
	v_cvt_pk_f32_fp8_sdwa v[40:41], v237 src0_sel:WORD_1       // 0000000058FC: 7E50ACF9 000506ED
	v_perm_b32 v186, v39, v38, s52                             // 000000005904: D1ED00BA 00D24D27
	v_perm_b32 v187, v41, v40, s52                             // 00000000590C: D1ED00BB 00D25129
	v_cvt_pk_f32_fp8_sdwa v[38:39], v238 src0_sel:WORD_0       // 000000005914: 7E4CACF9 000406EE
	v_cvt_pk_f32_fp8_sdwa v[40:41], v238 src0_sel:WORD_1       // 00000000591C: 7E50ACF9 000506EE
	v_perm_b32 v188, v39, v38, s52                             // 000000005924: D1ED00BC 00D24D27
	v_perm_b32 v189, v41, v40, s52                             // 00000000592C: D1ED00BD 00D25129
	v_cvt_pk_f32_fp8_sdwa v[38:39], v239 src0_sel:WORD_0       // 000000005934: 7E4CACF9 000406EF
	v_cvt_pk_f32_fp8_sdwa v[40:41], v239 src0_sel:WORD_1       // 00000000593C: 7E50ACF9 000506EF
	v_perm_b32 v190, v39, v38, s52                             // 000000005944: D1ED00BE 00D24D27
	v_perm_b32 v191, v41, v40, s52                             // 00000000594C: D1ED00BF 00D25129
	s_waitcnt lgkmcnt(0)                                       // 000000005954: BF8CC07F
	s_barrier                                                  // 000000005958: BF8A0000
	ds_read_b64 v[88:89], v12 offset:6272                      // 00000000595C: D8EC1880 5800000C
	ds_read_b64 v[90:91], v12 offset:6400                      // 000000005964: D8EC1900 5A00000C
	ds_read_b64 v[92:93], v12 offset:6528                      // 00000000596C: D8EC1980 5C00000C
	ds_read_b64 v[94:95], v12 offset:6656                      // 000000005974: D8EC1A00 5E00000C
	ds_read_b64 v[96:97], v12 offset:8320                      // 00000000597C: D8EC2080 6000000C
	ds_read_b64 v[98:99], v12 offset:8448                      // 000000005984: D8EC2100 6200000C
	ds_read_b64 v[100:101], v12 offset:8576                    // 00000000598C: D8EC2180 6400000C
	ds_read_b64 v[102:103], v12 offset:8704                    // 000000005994: D8EC2200 6600000C
	s_waitcnt vmcnt(0)                                         // 00000000599C: BF8C0F70
	v_cvt_pk_f32_fp8_sdwa v[38:39], v240 src0_sel:WORD_0       // 0000000059A0: 7E4CACF9 000406F0
	v_cvt_pk_f32_fp8_sdwa v[40:41], v240 src0_sel:WORD_1       // 0000000059A8: 7E50ACF9 000506F0
	v_perm_b32 v224, v39, v38, s52                             // 0000000059B0: D1ED00E0 00D24D27
	v_perm_b32 v225, v41, v40, s52                             // 0000000059B8: D1ED00E1 00D25129
	v_cvt_pk_f32_fp8_sdwa v[38:39], v241 src0_sel:WORD_0       // 0000000059C0: 7E4CACF9 000406F1
	v_cvt_pk_f32_fp8_sdwa v[40:41], v241 src0_sel:WORD_1       // 0000000059C8: 7E50ACF9 000506F1
	v_perm_b32 v226, v39, v38, s52                             // 0000000059D0: D1ED00E2 00D24D27
	v_perm_b32 v227, v41, v40, s52                             // 0000000059D8: D1ED00E3 00D25129
	v_cvt_pk_f32_fp8_sdwa v[38:39], v242 src0_sel:WORD_0       // 0000000059E0: 7E4CACF9 000406F2
	v_cvt_pk_f32_fp8_sdwa v[40:41], v242 src0_sel:WORD_1       // 0000000059E8: 7E50ACF9 000506F2
	v_perm_b32 v228, v39, v38, s52                             // 0000000059F0: D1ED00E4 00D24D27
	v_perm_b32 v229, v41, v40, s52                             // 0000000059F8: D1ED00E5 00D25129
	v_cvt_pk_f32_fp8_sdwa v[38:39], v243 src0_sel:WORD_0       // 000000005A00: 7E4CACF9 000406F3
	v_cvt_pk_f32_fp8_sdwa v[40:41], v243 src0_sel:WORD_1       // 000000005A08: 7E50ACF9 000506F3
	v_perm_b32 v230, v39, v38, s52                             // 000000005A10: D1ED00E6 00D24D27
	v_perm_b32 v231, v41, v40, s52                             // 000000005A18: D1ED00E7 00D25129
	v_cvt_pk_f32_fp8_sdwa v[38:39], v244 src0_sel:WORD_0       // 000000005A20: 7E4CACF9 000406F4
	v_cvt_pk_f32_fp8_sdwa v[40:41], v244 src0_sel:WORD_1       // 000000005A28: 7E50ACF9 000506F4
	v_perm_b32 v232, v39, v38, s52                             // 000000005A30: D1ED00E8 00D24D27
	v_perm_b32 v233, v41, v40, s52                             // 000000005A38: D1ED00E9 00D25129
	v_cvt_pk_f32_fp8_sdwa v[38:39], v245 src0_sel:WORD_0       // 000000005A40: 7E4CACF9 000406F5
	v_cvt_pk_f32_fp8_sdwa v[40:41], v245 src0_sel:WORD_1       // 000000005A48: 7E50ACF9 000506F5
	v_perm_b32 v234, v39, v38, s52                             // 000000005A50: D1ED00EA 00D24D27
	v_perm_b32 v235, v41, v40, s52                             // 000000005A58: D1ED00EB 00D25129
	v_cvt_pk_f32_fp8_sdwa v[38:39], v246 src0_sel:WORD_0       // 000000005A60: 7E4CACF9 000406F6
	v_cvt_pk_f32_fp8_sdwa v[40:41], v246 src0_sel:WORD_1       // 000000005A68: 7E50ACF9 000506F6
	v_perm_b32 v236, v39, v38, s52                             // 000000005A70: D1ED00EC 00D24D27
	v_perm_b32 v237, v41, v40, s52                             // 000000005A78: D1ED00ED 00D25129
	v_cvt_pk_f32_fp8_sdwa v[38:39], v247 src0_sel:WORD_0       // 000000005A80: 7E4CACF9 000406F7
	v_cvt_pk_f32_fp8_sdwa v[40:41], v247 src0_sel:WORD_1       // 000000005A88: 7E50ACF9 000506F7
	v_perm_b32 v238, v39, v38, s52                             // 000000005A90: D1ED00EE 00D24D27
	v_perm_b32 v239, v41, v40, s52                             // 000000005A98: D1ED00EF 00D25129
	v_cvt_pk_f32_fp8_sdwa v[38:39], v248 src0_sel:WORD_0       // 000000005AA0: 7E4CACF9 000406F8
	v_cvt_pk_f32_fp8_sdwa v[40:41], v248 src0_sel:WORD_1       // 000000005AA8: 7E50ACF9 000506F8
	v_perm_b32 v240, v39, v38, s52                             // 000000005AB0: D1ED00F0 00D24D27
	v_perm_b32 v241, v41, v40, s52                             // 000000005AB8: D1ED00F1 00D25129
	v_cvt_pk_f32_fp8_sdwa v[38:39], v249 src0_sel:WORD_0       // 000000005AC0: 7E4CACF9 000406F9
	v_cvt_pk_f32_fp8_sdwa v[40:41], v249 src0_sel:WORD_1       // 000000005AC8: 7E50ACF9 000506F9
	v_perm_b32 v242, v39, v38, s52                             // 000000005AD0: D1ED00F2 00D24D27
	v_perm_b32 v243, v41, v40, s52                             // 000000005AD8: D1ED00F3 00D25129
	v_cvt_pk_f32_fp8_sdwa v[38:39], v250 src0_sel:WORD_0       // 000000005AE0: 7E4CACF9 000406FA
	v_cvt_pk_f32_fp8_sdwa v[40:41], v250 src0_sel:WORD_1       // 000000005AE8: 7E50ACF9 000506FA
	v_perm_b32 v244, v39, v38, s52                             // 000000005AF0: D1ED00F4 00D24D27
	v_perm_b32 v245, v41, v40, s52                             // 000000005AF8: D1ED00F5 00D25129
	v_cvt_pk_f32_fp8_sdwa v[38:39], v251 src0_sel:WORD_0       // 000000005B00: 7E4CACF9 000406FB
	v_cvt_pk_f32_fp8_sdwa v[40:41], v251 src0_sel:WORD_1       // 000000005B08: 7E50ACF9 000506FB
	v_perm_b32 v246, v39, v38, s52                             // 000000005B10: D1ED00F6 00D24D27
	v_perm_b32 v247, v41, v40, s52                             // 000000005B18: D1ED00F7 00D25129
	v_cvt_pk_f32_fp8_sdwa v[38:39], v252 src0_sel:WORD_0       // 000000005B20: 7E4CACF9 000406FC
	v_cvt_pk_f32_fp8_sdwa v[40:41], v252 src0_sel:WORD_1       // 000000005B28: 7E50ACF9 000506FC
	v_perm_b32 v248, v39, v38, s52                             // 000000005B30: D1ED00F8 00D24D27
	v_perm_b32 v249, v41, v40, s52                             // 000000005B38: D1ED00F9 00D25129
	v_cvt_pk_f32_fp8_sdwa v[38:39], v253 src0_sel:WORD_0       // 000000005B40: 7E4CACF9 000406FD
	v_cvt_pk_f32_fp8_sdwa v[40:41], v253 src0_sel:WORD_1       // 000000005B48: 7E50ACF9 000506FD
	v_perm_b32 v250, v39, v38, s52                             // 000000005B50: D1ED00FA 00D24D27
	v_perm_b32 v251, v41, v40, s52                             // 000000005B58: D1ED00FB 00D25129
	v_cvt_pk_f32_fp8_sdwa v[38:39], v254 src0_sel:WORD_0       // 000000005B60: 7E4CACF9 000406FE
	v_cvt_pk_f32_fp8_sdwa v[40:41], v254 src0_sel:WORD_1       // 000000005B68: 7E50ACF9 000506FE
	v_perm_b32 v252, v39, v38, s52                             // 000000005B70: D1ED00FC 00D24D27
	v_perm_b32 v253, v41, v40, s52                             // 000000005B78: D1ED00FD 00D25129
	v_cvt_pk_f32_fp8_sdwa v[38:39], v255 src0_sel:WORD_0       // 000000005B80: 7E4CACF9 000406FF
	v_cvt_pk_f32_fp8_sdwa v[40:41], v255 src0_sel:WORD_1       // 000000005B88: 7E50ACF9 000506FF
	v_perm_b32 v254, v39, v38, s52                             // 000000005B90: D1ED00FE 00D24D27
	v_perm_b32 v255, v41, v40, s52                             // 000000005B98: D1ED00FF 00D25129
	v_add_f32_e32 v112, v112, v104                             // 000000005BA0: 02E0D170
	v_add_f32_e32 v113, v113, v105                             // 000000005BA4: 02E2D371
	v_add_f32_e32 v114, v114, v106                             // 000000005BA8: 02E4D572
	v_add_f32_e32 v115, v115, v107                             // 000000005BAC: 02E6D773
	s_waitcnt lgkmcnt(7)                                       // 000000005BB0: BF8CC77F
	v_mov_b32_dpp v64, v88 row_shl:8 row_mask:0xf bank_mask:0xf bound_ctrl:1// 000000005BB4: 7E8002FA FF090858
	v_and_b32_e32 v88, v88, v9                                 // 000000005BBC: 26B01358
	v_mov_b32_dpp v65, v89 row_shl:8 row_mask:0xf bank_mask:0xf bound_ctrl:1// 000000005BC0: 7E8202FA FF090859
	v_and_b32_e32 v89, v89, v9                                 // 000000005BC8: 26B21359
	s_waitcnt lgkmcnt(6)                                       // 000000005BCC: BF8CC67F
	v_mov_b32_dpp v66, v90 row_shl:8 row_mask:0xf bank_mask:0xf bound_ctrl:1// 000000005BD0: 7E8402FA FF09085A
	v_and_b32_e32 v90, v90, v9                                 // 000000005BD8: 26B4135A
	v_mov_b32_dpp v67, v91 row_shl:8 row_mask:0xf bank_mask:0xf bound_ctrl:1// 000000005BDC: 7E8602FA FF09085B
	v_and_b32_e32 v91, v91, v9                                 // 000000005BE4: 26B6135B
	s_waitcnt lgkmcnt(5)                                       // 000000005BE8: BF8CC57F
	v_mov_b32_dpp v68, v92 row_shl:8 row_mask:0xf bank_mask:0xf bound_ctrl:1// 000000005BEC: 7E8802FA FF09085C
	v_and_b32_e32 v92, v92, v9                                 // 000000005BF4: 26B8135C
	v_mov_b32_dpp v69, v93 row_shl:8 row_mask:0xf bank_mask:0xf bound_ctrl:1// 000000005BF8: 7E8A02FA FF09085D
	v_and_b32_e32 v93, v93, v9                                 // 000000005C00: 26BA135D
	s_waitcnt lgkmcnt(4)                                       // 000000005C04: BF8CC47F
	v_mov_b32_dpp v70, v94 row_shl:8 row_mask:0xf bank_mask:0xf bound_ctrl:1// 000000005C08: 7E8C02FA FF09085E
	v_and_b32_e32 v94, v94, v9                                 // 000000005C10: 26BC135E
	v_mov_b32_dpp v71, v95 row_shl:8 row_mask:0xf bank_mask:0xf bound_ctrl:1// 000000005C14: 7E8E02FA FF09085F
	v_and_b32_e32 v95, v95, v9                                 // 000000005C1C: 26BE135F
	s_waitcnt lgkmcnt(3)                                       // 000000005C20: BF8CC37F
	v_mov_b32_dpp v72, v96 row_shl:8 row_mask:0xf bank_mask:0xf bound_ctrl:1// 000000005C24: 7E9002FA FF090860
	v_and_b32_e32 v96, v96, v9                                 // 000000005C2C: 26C01360
	v_mov_b32_dpp v73, v97 row_shl:8 row_mask:0xf bank_mask:0xf bound_ctrl:1// 000000005C30: 7E9202FA FF090861
	v_and_b32_e32 v97, v97, v9                                 // 000000005C38: 26C21361
	s_waitcnt lgkmcnt(2)                                       // 000000005C3C: BF8CC27F
	v_mov_b32_dpp v74, v98 row_shl:8 row_mask:0xf bank_mask:0xf bound_ctrl:1// 000000005C40: 7E9402FA FF090862
	v_and_b32_e32 v98, v98, v9                                 // 000000005C48: 26C41362
	v_mov_b32_dpp v75, v99 row_shl:8 row_mask:0xf bank_mask:0xf bound_ctrl:1// 000000005C4C: 7E9602FA FF090863
	v_and_b32_e32 v99, v99, v9                                 // 000000005C54: 26C61363
	s_waitcnt lgkmcnt(1)                                       // 000000005C58: BF8CC17F
	v_mov_b32_dpp v76, v100 row_shl:8 row_mask:0xf bank_mask:0xf bound_ctrl:1// 000000005C5C: 7E9802FA FF090864
	v_and_b32_e32 v100, v100, v9                               // 000000005C64: 26C81364
	v_mov_b32_dpp v77, v101 row_shl:8 row_mask:0xf bank_mask:0xf bound_ctrl:1// 000000005C68: 7E9A02FA FF090865
	v_and_b32_e32 v101, v101, v9                               // 000000005C70: 26CA1365
	s_waitcnt lgkmcnt(0)                                       // 000000005C74: BF8CC07F
	v_mov_b32_dpp v78, v102 row_shl:8 row_mask:0xf bank_mask:0xf bound_ctrl:1// 000000005C78: 7E9C02FA FF090866
	v_and_b32_e32 v102, v102, v9                               // 000000005C80: 26CC1366
	v_mov_b32_dpp v79, v103 row_shl:8 row_mask:0xf bank_mask:0xf bound_ctrl:1// 000000005C84: 7E9E02FA FF090867
	v_and_b32_e32 v103, v103, v9                               // 000000005C8C: 26CE1367
	s_waitcnt vmcnt(0)                                         // 000000005C90: BF8C0F70
	s_barrier                                                  // 000000005C94: BF8A0000
	v_mfma_f32_16x16x16_bf16 v[104:107], v[160:161], v[88:89], 0// 000000005C98: D3E10068 0202B1A0
	v_mfma_f32_16x16x16_bf16 v[104:107], v[162:163], v[90:91], v[104:107]// 000000005CA0: D3E10068 05A2B5A2
	v_mfma_f32_16x16x16_bf16 v[104:107], v[164:165], v[92:93], v[104:107]// 000000005CA8: D3E10068 05A2B9A4
	v_mfma_f32_16x16x16_bf16 v[104:107], v[166:167], v[94:95], v[104:107]// 000000005CB0: D3E10068 05A2BDA6
	v_mfma_f32_16x16x16_bf16 v[104:107], v[168:169], v[96:97], v[104:107]// 000000005CB8: D3E10068 05A2C1A8
	v_mfma_f32_16x16x16_bf16 v[104:107], v[170:171], v[98:99], v[104:107]// 000000005CC0: D3E10068 05A2C5AA
	v_mfma_f32_16x16x16_bf16 v[104:107], v[172:173], v[100:101], v[104:107]// 000000005CC8: D3E10068 05A2C9AC
	v_mfma_f32_16x16x16_bf16 v[104:107], v[174:175], v[102:103], v[104:107]// 000000005CD0: D3E10068 05A2CDAE
	v_mfma_f32_16x16x16_bf16 v[104:107], v[176:177], v[64:65], v[104:107]// 000000005CD8: D3E10068 05A281B0
	v_mfma_f32_16x16x16_bf16 v[104:107], v[178:179], v[66:67], v[104:107]// 000000005CE0: D3E10068 05A285B2
	v_mfma_f32_16x16x16_bf16 v[104:107], v[180:181], v[68:69], v[104:107]// 000000005CE8: D3E10068 05A289B4
	v_mfma_f32_16x16x16_bf16 v[104:107], v[182:183], v[70:71], v[104:107]// 000000005CF0: D3E10068 05A28DB6
	v_mfma_f32_16x16x16_bf16 v[104:107], v[184:185], v[72:73], v[104:107]// 000000005CF8: D3E10068 05A291B8
	v_mfma_f32_16x16x16_bf16 v[104:107], v[186:187], v[74:75], v[104:107]// 000000005D00: D3E10068 05A295BA
	v_mfma_f32_16x16x16_bf16 v[104:107], v[188:189], v[76:77], v[104:107]// 000000005D08: D3E10068 05A299BC
	v_mfma_f32_16x16x16_bf16 v[104:107], v[190:191], v[78:79], v[104:107]// 000000005D10: D3E10068 05A29DBE
	v_mfma_f32_16x16x16_bf16 v[108:111], v[224:225], v[88:89], 0// 000000005D18: D3E1006C 0202B1E0
	v_mfma_f32_16x16x16_bf16 v[108:111], v[226:227], v[90:91], v[108:111]// 000000005D20: D3E1006C 05B2B5E2
	v_mfma_f32_16x16x16_bf16 v[108:111], v[228:229], v[92:93], v[108:111]// 000000005D28: D3E1006C 05B2B9E4
	v_mfma_f32_16x16x16_bf16 v[108:111], v[230:231], v[94:95], v[108:111]// 000000005D30: D3E1006C 05B2BDE6
	v_mfma_f32_16x16x16_bf16 v[108:111], v[232:233], v[96:97], v[108:111]// 000000005D38: D3E1006C 05B2C1E8
	v_mfma_f32_16x16x16_bf16 v[108:111], v[234:235], v[98:99], v[108:111]// 000000005D40: D3E1006C 05B2C5EA
	v_mfma_f32_16x16x16_bf16 v[108:111], v[236:237], v[100:101], v[108:111]// 000000005D48: D3E1006C 05B2C9EC
	v_mfma_f32_16x16x16_bf16 v[108:111], v[238:239], v[102:103], v[108:111]// 000000005D50: D3E1006C 05B2CDEE
	v_mfma_f32_16x16x16_bf16 v[108:111], v[240:241], v[64:65], v[108:111]// 000000005D58: D3E1006C 05B281F0
	v_mfma_f32_16x16x16_bf16 v[108:111], v[242:243], v[66:67], v[108:111]// 000000005D60: D3E1006C 05B285F2
	v_mfma_f32_16x16x16_bf16 v[108:111], v[244:245], v[68:69], v[108:111]// 000000005D68: D3E1006C 05B289F4
	v_mfma_f32_16x16x16_bf16 v[108:111], v[246:247], v[70:71], v[108:111]// 000000005D70: D3E1006C 05B28DF6
	v_mfma_f32_16x16x16_bf16 v[108:111], v[248:249], v[72:73], v[108:111]// 000000005D78: D3E1006C 05B291F8
	v_mfma_f32_16x16x16_bf16 v[108:111], v[250:251], v[74:75], v[108:111]// 000000005D80: D3E1006C 05B295FA
	v_mfma_f32_16x16x16_bf16 v[108:111], v[252:253], v[76:77], v[108:111]// 000000005D88: D3E1006C 05B299FC
	v_mfma_f32_16x16x16_bf16 v[108:111], v[254:255], v[78:79], v[108:111]// 000000005D90: D3E1006C 05B29DFE
	s_nop 4                                                    // 000000005D98: BF800004
	s_branch label_0F28                                        // 000000005D9C: BF820000

0000000000005da0 <label_0F28>:
	v_mul_f32_e32 v112, v49, v112                              // 000000005DA0: 0AE0E131
	v_mul_f32_e32 v113, v49, v113                              // 000000005DA4: 0AE2E331
	v_mul_f32_e32 v114, v49, v114                              // 000000005DA8: 0AE4E531
	v_mul_f32_e32 v115, v49, v115                              // 000000005DAC: 0AE6E731
	v_or_b32_dpp v104, v108, v104 row_shr:8 row_mask:0xf bank_mask:0xf bound_ctrl:1// 000000005DB0: 28D0D0FA FF09186C
	v_or_b32_dpp v105, v109, v105 row_shr:8 row_mask:0xf bank_mask:0xf bound_ctrl:1// 000000005DB8: 28D2D2FA FF09186D
	v_or_b32_dpp v106, v110, v106 row_shr:8 row_mask:0xf bank_mask:0xf bound_ctrl:1// 000000005DC0: 28D4D4FA FF09186E
	v_or_b32_dpp v107, v111, v107 row_shr:8 row_mask:0xf bank_mask:0xf bound_ctrl:1// 000000005DC8: 28D6D6FA FF09186F
	v_add_f32_e32 v112, v112, v104                             // 000000005DD0: 02E0D170
	v_add_f32_e32 v113, v113, v105                             // 000000005DD4: 02E2D371
	v_add_f32_e32 v114, v114, v106                             // 000000005DD8: 02E4D572
	v_add_f32_e32 v115, v115, v107                             // 000000005DDC: 02E6D773
	s_branch label_0F4D                                        // 000000005DE0: BF820014

0000000000005de4 <label_0F39>:
	v_mul_f32_e32 v112, v49, v112                              // 000000005DE4: 0AE0E131
	v_mul_f32_e32 v113, v49, v113                              // 000000005DE8: 0AE2E331
	v_mul_f32_e32 v114, v49, v114                              // 000000005DEC: 0AE4E531
	v_mul_f32_e32 v115, v49, v115                              // 000000005DF0: 0AE6E731
	v_or_b32_dpp v104, v108, v104 row_shr:8 row_mask:0xf bank_mask:0xf bound_ctrl:1// 000000005DF4: 28D0D0FA FF09186C
	v_or_b32_dpp v105, v109, v105 row_shr:8 row_mask:0xf bank_mask:0xf bound_ctrl:1// 000000005DFC: 28D2D2FA FF09186D
	v_or_b32_dpp v106, v110, v106 row_shr:8 row_mask:0xf bank_mask:0xf bound_ctrl:1// 000000005E04: 28D4D4FA FF09186E
	v_or_b32_dpp v107, v111, v107 row_shr:8 row_mask:0xf bank_mask:0xf bound_ctrl:1// 000000005E0C: 28D6D6FA FF09186F
	v_mul_f32_e32 v104, v47, v104                              // 000000005E14: 0AD0D12F
	v_mul_f32_e32 v105, v47, v105                              // 000000005E18: 0AD2D32F
	v_mul_f32_e32 v106, v47, v106                              // 000000005E1C: 0AD4D52F
	v_mul_f32_e32 v107, v47, v107                              // 000000005E20: 0AD6D72F
	v_add_f32_e32 v112, v112, v104                             // 000000005E24: 02E0D170
	v_add_f32_e32 v113, v113, v105                             // 000000005E28: 02E2D371
	v_add_f32_e32 v114, v114, v106                             // 000000005E2C: 02E4D572
	v_add_f32_e32 v115, v115, v107                             // 000000005E30: 02E6D773

0000000000005e34 <label_0F4D>:
	ds_write_b32 v11, v42 offset:4224                          // 000000005E34: D81A1080 00002A0B
	s_waitcnt lgkmcnt(0)                                       // 000000005E3C: BF8CC07F
	s_barrier                                                  // 000000005E40: BF8A0000
	ds_read_b32 v64, v10 offset:4224                           // 000000005E44: D86C1080 4000000A
	ds_read_b32 v65, v10 offset:4288                           // 000000005E4C: D86C10C0 4100000A
	ds_read_b32 v66, v10 offset:4352                           // 000000005E54: D86C1100 4200000A
	ds_read_b32 v67, v10 offset:4416                           // 000000005E5C: D86C1140 4300000A
	ds_read_b32 v68, v10 offset:4480                           // 000000005E64: D86C1180 4400000A
	ds_read_b32 v69, v10 offset:4544                           // 000000005E6C: D86C11C0 4500000A
	ds_read_b32 v70, v10 offset:4608                           // 000000005E74: D86C1200 4600000A
	ds_read_b32 v71, v10 offset:4672                           // 000000005E7C: D86C1240 4700000A
	ds_read_b32 v72, v10 offset:4736                           // 000000005E84: D86C1280 4800000A
	ds_read_b32 v73, v10 offset:4800                           // 000000005E8C: D86C12C0 4900000A
	ds_read_b32 v74, v10 offset:4864                           // 000000005E94: D86C1300 4A00000A
	ds_read_b32 v75, v10 offset:4928                           // 000000005E9C: D86C1340 4B00000A
	ds_read_b32 v76, v10 offset:4992                           // 000000005EA4: D86C1380 4C00000A
	ds_read_b32 v77, v10 offset:5056                           // 000000005EAC: D86C13C0 4D00000A
	ds_read_b32 v78, v10 offset:5120                           // 000000005EB4: D86C1400 4E00000A
	ds_read_b32 v79, v10 offset:5184                           // 000000005EBC: D86C1440 4F00000A
	s_waitcnt lgkmcnt(0)                                       // 000000005EC4: BF8CC07F
	v_mov_b32_e32 v42, 0                                       // 000000005EC8: 7E540280
	v_add_f32_e32 v42, v64, v42                                // 000000005ECC: 02545540
	v_add_f32_e32 v42, v65, v42                                // 000000005ED0: 02545541
	v_add_f32_e32 v42, v66, v42                                // 000000005ED4: 02545542
	v_add_f32_e32 v42, v67, v42                                // 000000005ED8: 02545543
	v_add_f32_e32 v42, v68, v42                                // 000000005EDC: 02545544
	v_add_f32_e32 v42, v69, v42                                // 000000005EE0: 02545545
	v_add_f32_e32 v42, v70, v42                                // 000000005EE4: 02545546
	v_add_f32_e32 v42, v71, v42                                // 000000005EE8: 02545547
	v_add_f32_e32 v42, v72, v42                                // 000000005EEC: 02545548
	v_add_f32_e32 v42, v73, v42                                // 000000005EF0: 02545549
	v_add_f32_e32 v42, v74, v42                                // 000000005EF4: 0254554A
	v_add_f32_e32 v42, v75, v42                                // 000000005EF8: 0254554B
	v_add_f32_e32 v42, v76, v42                                // 000000005EFC: 0254554C
	v_add_f32_e32 v42, v77, v42                                // 000000005F00: 0254554D
	v_add_f32_e32 v42, v78, v42                                // 000000005F04: 0254554E
	v_add_f32_e32 v42, v79, v42                                // 000000005F08: 0254554F
	s_nop 1                                                    // 000000005F0C: BF800001
	v_mov_b32_dpp v38, v42 row_ror:8 row_mask:0xf bank_mask:0xf// 000000005F10: 7E4C02FA FF01282A
	v_add_f32_e32 v42, v42, v38                                // 000000005F18: 02544D2A
	v_rcp_f32_e32 v42, v42                                     // 000000005F1C: 7E54452A
	s_nop 1                                                    // 000000005F20: BF800001
	v_mul_f32_e32 v112, v42, v112                              // 000000005F24: 0AE0E12A
	v_mul_f32_e32 v113, v42, v113                              // 000000005F28: 0AE2E32A
	v_mul_f32_e32 v114, v42, v114                              // 000000005F2C: 0AE4E52A
	v_mul_f32_e32 v115, v42, v115                              // 000000005F30: 0AE6E72A
	v_cvt_pkrtz_f16_f32 v38, v112, v113                        // 000000005F34: D2960026 0002E370
	v_mov_b32_e32 v112, v38                                    // 000000005F3C: 7EE00326
	v_cvt_pkrtz_f16_f32 v38, v114, v115                        // 000000005F40: D2960026 0002E772
	v_mov_b32_e32 v113, v38                                    // 000000005F48: 7EE20326
	s_nop 1                                                    // 000000005F4C: BF800001
	v_mov_b32_dpp v114, v112 row_shl:8 row_mask:0xf bank_mask:0xf bound_ctrl:1// 000000005F50: 7EE402FA FF090870
	v_and_b32_e32 v112, v112, v9                               // 000000005F58: 26E01370
	v_mov_b32_dpp v115, v113 row_shl:8 row_mask:0xf bank_mask:0xf bound_ctrl:1// 000000005F5C: 7EE602FA FF090871
	v_and_b32_e32 v113, v113, v9                               // 000000005F64: 26E21371
	v_lshrrev_b32_e32 v38, 4, v0                               // 000000005F68: 204C0084
	v_mul_i32_i24_e32 v5, 34, v38                              // 000000005F6C: 0C0A4CA2
	v_and_b32_e32 v38, 15, v0                                  // 000000005F70: 264C008F
	v_mul_i32_i24_e32 v39, 2, v38                              // 000000005F74: 0C4E4C82
	v_add_u32_e32 v5, v39, v5                                  // 000000005F78: 680A0B27
	s_mul_i32 s60, s7, 0x88                                    // 000000005F7C: 923CFF07 00000088
	v_add_u32_e32 v5, s60, v5                                  // 000000005F84: 680A0A3C
	v_lshlrev_b32_e32 v5, 2, v5                                // 000000005F88: 240A0A82
	ds_write_b64 v5, v[112:113] offset:14464                   // 000000005F8C: D89A3880 00007005
	ds_write_b64 v5, v[114:115] offset:16640                   // 000000005F94: D89A4100 00007205
	v_lshrrev_b32_e32 v38, 1, v0                               // 000000005F9C: 204C0081
	v_mul_i32_i24_e32 v5, 34, v38                              // 000000005FA0: 0C0A4CA2
	v_and_b32_e32 v39, 1, v0                                   // 000000005FA4: 264E0081
	v_add_u32_e32 v5, v39, v5                                  // 000000005FA8: 680A0B27
	s_mul_i32 s60, s7, 2                                       // 000000005FAC: 923C8207
	v_add_u32_e32 v5, s60, v5                                  // 000000005FB0: 680A0A3C
	v_lshlrev_b32_e32 v5, 2, v5                                // 000000005FB4: 240A0A82
	s_waitcnt lgkmcnt(0)                                       // 000000005FB8: BF8CC07F
	s_barrier                                                  // 000000005FBC: BF8A0000
	ds_read_b32 v112, v5 offset:14464                          // 000000005FC0: D86C3880 70000005
	ds_read_b32 v113, v5 offset:14496                          // 000000005FC8: D86C38A0 71000005
	s_waitcnt lgkmcnt(0)                                       // 000000005FD0: BF8CC07F
	buffer_store_dword v112, v8, s[8:11], 0 offen              // 000000005FD4: E0701000 80027008
	buffer_store_dword v113, v8, s[8:11], 0 offen offset:1024  // 000000005FDC: E0701400 80027108
	s_waitcnt vmcnt(0) expcnt(0) lgkmcnt(0)                    // 000000005FE4: BF8C0000
	s_endpgm                                                   // 000000005FE8: BF810000
